;; amdgpu-corpus repo=ROCm/rocFFT kind=compiled arch=gfx1030 opt=O3
	.text
	.amdgcn_target "amdgcn-amd-amdhsa--gfx1030"
	.amdhsa_code_object_version 6
	.protected	fft_rtc_back_len1014_factors_13_6_13_wgs_156_tpt_78_half_op_CI_CI_unitstride_sbrr_C2R_dirReg ; -- Begin function fft_rtc_back_len1014_factors_13_6_13_wgs_156_tpt_78_half_op_CI_CI_unitstride_sbrr_C2R_dirReg
	.globl	fft_rtc_back_len1014_factors_13_6_13_wgs_156_tpt_78_half_op_CI_CI_unitstride_sbrr_C2R_dirReg
	.p2align	8
	.type	fft_rtc_back_len1014_factors_13_6_13_wgs_156_tpt_78_half_op_CI_CI_unitstride_sbrr_C2R_dirReg,@function
fft_rtc_back_len1014_factors_13_6_13_wgs_156_tpt_78_half_op_CI_CI_unitstride_sbrr_C2R_dirReg: ; @fft_rtc_back_len1014_factors_13_6_13_wgs_156_tpt_78_half_op_CI_CI_unitstride_sbrr_C2R_dirReg
; %bb.0:
	s_clause 0x2
	s_load_dwordx4 s[12:15], s[4:5], 0x0
	s_load_dwordx4 s[8:11], s[4:5], 0x58
	;; [unrolled: 1-line block ×3, first 2 shown]
	v_mul_u32_u24_e32 v1, 0x349, v0
	v_mov_b32_e32 v3, 0
	v_mov_b32_e32 v7, 0
	;; [unrolled: 1-line block ×3, first 2 shown]
	v_lshrrev_b32_e32 v11, 16, v1
	v_mov_b32_e32 v10, v3
	v_lshl_add_u32 v9, s6, 1, v11
	s_waitcnt lgkmcnt(0)
	v_cmp_lt_u64_e64 s0, s[14:15], 2
	s_and_b32 vcc_lo, exec_lo, s0
	s_cbranch_vccnz .LBB0_8
; %bb.1:
	s_load_dwordx2 s[0:1], s[4:5], 0x10
	v_mov_b32_e32 v7, 0
	v_mov_b32_e32 v8, 0
	s_add_u32 s2, s18, 8
	s_addc_u32 s3, s19, 0
	v_mov_b32_e32 v1, v7
	s_add_u32 s6, s16, 8
	v_mov_b32_e32 v2, v8
	s_addc_u32 s7, s17, 0
	s_mov_b64 s[22:23], 1
	s_waitcnt lgkmcnt(0)
	s_add_u32 s20, s0, 8
	s_addc_u32 s21, s1, 0
.LBB0_2:                                ; =>This Inner Loop Header: Depth=1
	s_load_dwordx2 s[24:25], s[20:21], 0x0
                                        ; implicit-def: $vgpr5_vgpr6
	s_mov_b32 s0, exec_lo
	s_waitcnt lgkmcnt(0)
	v_or_b32_e32 v4, s25, v10
	v_cmpx_ne_u64_e32 0, v[3:4]
	s_xor_b32 s1, exec_lo, s0
	s_cbranch_execz .LBB0_4
; %bb.3:                                ;   in Loop: Header=BB0_2 Depth=1
	v_cvt_f32_u32_e32 v4, s24
	v_cvt_f32_u32_e32 v5, s25
	s_sub_u32 s0, 0, s24
	s_subb_u32 s26, 0, s25
	v_fmac_f32_e32 v4, 0x4f800000, v5
	v_rcp_f32_e32 v4, v4
	v_mul_f32_e32 v4, 0x5f7ffffc, v4
	v_mul_f32_e32 v5, 0x2f800000, v4
	v_trunc_f32_e32 v5, v5
	v_fmac_f32_e32 v4, 0xcf800000, v5
	v_cvt_u32_f32_e32 v5, v5
	v_cvt_u32_f32_e32 v4, v4
	v_mul_lo_u32 v6, s0, v5
	v_mul_hi_u32 v12, s0, v4
	v_mul_lo_u32 v13, s26, v4
	v_add_nc_u32_e32 v6, v12, v6
	v_mul_lo_u32 v12, s0, v4
	v_add_nc_u32_e32 v6, v6, v13
	v_mul_hi_u32 v13, v4, v12
	v_mul_lo_u32 v14, v4, v6
	v_mul_hi_u32 v15, v4, v6
	v_mul_hi_u32 v16, v5, v12
	v_mul_lo_u32 v12, v5, v12
	v_mul_hi_u32 v17, v5, v6
	v_mul_lo_u32 v6, v5, v6
	v_add_co_u32 v13, vcc_lo, v13, v14
	v_add_co_ci_u32_e32 v14, vcc_lo, 0, v15, vcc_lo
	v_add_co_u32 v12, vcc_lo, v13, v12
	v_add_co_ci_u32_e32 v12, vcc_lo, v14, v16, vcc_lo
	v_add_co_ci_u32_e32 v13, vcc_lo, 0, v17, vcc_lo
	v_add_co_u32 v6, vcc_lo, v12, v6
	v_add_co_ci_u32_e32 v12, vcc_lo, 0, v13, vcc_lo
	v_add_co_u32 v4, vcc_lo, v4, v6
	v_add_co_ci_u32_e32 v5, vcc_lo, v5, v12, vcc_lo
	v_mul_hi_u32 v6, s0, v4
	v_mul_lo_u32 v13, s26, v4
	v_mul_lo_u32 v12, s0, v5
	v_add_nc_u32_e32 v6, v6, v12
	v_mul_lo_u32 v12, s0, v4
	v_add_nc_u32_e32 v6, v6, v13
	v_mul_hi_u32 v13, v4, v12
	v_mul_lo_u32 v14, v4, v6
	v_mul_hi_u32 v15, v4, v6
	v_mul_hi_u32 v16, v5, v12
	v_mul_lo_u32 v12, v5, v12
	v_mul_hi_u32 v17, v5, v6
	v_mul_lo_u32 v6, v5, v6
	v_add_co_u32 v13, vcc_lo, v13, v14
	v_add_co_ci_u32_e32 v14, vcc_lo, 0, v15, vcc_lo
	v_add_co_u32 v12, vcc_lo, v13, v12
	v_add_co_ci_u32_e32 v12, vcc_lo, v14, v16, vcc_lo
	v_add_co_ci_u32_e32 v13, vcc_lo, 0, v17, vcc_lo
	v_add_co_u32 v6, vcc_lo, v12, v6
	v_add_co_ci_u32_e32 v12, vcc_lo, 0, v13, vcc_lo
	v_add_co_u32 v6, vcc_lo, v4, v6
	v_add_co_ci_u32_e32 v14, vcc_lo, v5, v12, vcc_lo
	v_mul_hi_u32 v16, v9, v6
	v_mad_u64_u32 v[12:13], null, v10, v6, 0
	v_mad_u64_u32 v[4:5], null, v9, v14, 0
	v_mad_u64_u32 v[14:15], null, v10, v14, 0
	v_add_co_u32 v4, vcc_lo, v16, v4
	v_add_co_ci_u32_e32 v5, vcc_lo, 0, v5, vcc_lo
	v_add_co_u32 v4, vcc_lo, v4, v12
	v_add_co_ci_u32_e32 v4, vcc_lo, v5, v13, vcc_lo
	v_add_co_ci_u32_e32 v5, vcc_lo, 0, v15, vcc_lo
	v_add_co_u32 v12, vcc_lo, v4, v14
	v_add_co_ci_u32_e32 v6, vcc_lo, 0, v5, vcc_lo
	v_mul_lo_u32 v13, s25, v12
	v_mad_u64_u32 v[4:5], null, s24, v12, 0
	v_mul_lo_u32 v14, s24, v6
	v_sub_co_u32 v4, vcc_lo, v9, v4
	v_add3_u32 v5, v5, v14, v13
	v_sub_nc_u32_e32 v13, v10, v5
	v_subrev_co_ci_u32_e64 v13, s0, s25, v13, vcc_lo
	v_add_co_u32 v14, s0, v12, 2
	v_add_co_ci_u32_e64 v15, s0, 0, v6, s0
	v_sub_co_u32 v16, s0, v4, s24
	v_sub_co_ci_u32_e32 v5, vcc_lo, v10, v5, vcc_lo
	v_subrev_co_ci_u32_e64 v13, s0, 0, v13, s0
	v_cmp_le_u32_e32 vcc_lo, s24, v16
	v_cmp_eq_u32_e64 s0, s25, v5
	v_cndmask_b32_e64 v16, 0, -1, vcc_lo
	v_cmp_le_u32_e32 vcc_lo, s25, v13
	v_cndmask_b32_e64 v17, 0, -1, vcc_lo
	v_cmp_le_u32_e32 vcc_lo, s24, v4
	;; [unrolled: 2-line block ×3, first 2 shown]
	v_cndmask_b32_e64 v18, 0, -1, vcc_lo
	v_cmp_eq_u32_e32 vcc_lo, s25, v13
	v_cndmask_b32_e64 v4, v18, v4, s0
	v_cndmask_b32_e32 v13, v17, v16, vcc_lo
	v_add_co_u32 v16, vcc_lo, v12, 1
	v_add_co_ci_u32_e32 v17, vcc_lo, 0, v6, vcc_lo
	v_cmp_ne_u32_e32 vcc_lo, 0, v13
	v_cndmask_b32_e32 v5, v17, v15, vcc_lo
	v_cndmask_b32_e32 v13, v16, v14, vcc_lo
	v_cmp_ne_u32_e32 vcc_lo, 0, v4
	v_cndmask_b32_e32 v6, v6, v5, vcc_lo
	v_cndmask_b32_e32 v5, v12, v13, vcc_lo
.LBB0_4:                                ;   in Loop: Header=BB0_2 Depth=1
	s_andn2_saveexec_b32 s0, s1
	s_cbranch_execz .LBB0_6
; %bb.5:                                ;   in Loop: Header=BB0_2 Depth=1
	v_cvt_f32_u32_e32 v4, s24
	s_sub_i32 s1, 0, s24
	v_rcp_iflag_f32_e32 v4, v4
	v_mul_f32_e32 v4, 0x4f7ffffe, v4
	v_cvt_u32_f32_e32 v4, v4
	v_mul_lo_u32 v5, s1, v4
	v_mul_hi_u32 v5, v4, v5
	v_add_nc_u32_e32 v4, v4, v5
	v_mul_hi_u32 v4, v9, v4
	v_mul_lo_u32 v5, v4, s24
	v_add_nc_u32_e32 v6, 1, v4
	v_sub_nc_u32_e32 v5, v9, v5
	v_subrev_nc_u32_e32 v12, s24, v5
	v_cmp_le_u32_e32 vcc_lo, s24, v5
	v_cndmask_b32_e32 v5, v5, v12, vcc_lo
	v_cndmask_b32_e32 v4, v4, v6, vcc_lo
	v_cmp_le_u32_e32 vcc_lo, s24, v5
	v_add_nc_u32_e32 v6, 1, v4
	v_cndmask_b32_e32 v5, v4, v6, vcc_lo
	v_mov_b32_e32 v6, v3
.LBB0_6:                                ;   in Loop: Header=BB0_2 Depth=1
	s_or_b32 exec_lo, exec_lo, s0
	v_mul_lo_u32 v4, v6, s24
	v_mul_lo_u32 v14, v5, s25
	s_load_dwordx2 s[0:1], s[6:7], 0x0
	v_mad_u64_u32 v[12:13], null, v5, s24, 0
	s_load_dwordx2 s[24:25], s[2:3], 0x0
	s_add_u32 s22, s22, 1
	s_addc_u32 s23, s23, 0
	s_add_u32 s2, s2, 8
	s_addc_u32 s3, s3, 0
	s_add_u32 s6, s6, 8
	v_add3_u32 v4, v13, v14, v4
	v_sub_co_u32 v9, vcc_lo, v9, v12
	s_addc_u32 s7, s7, 0
	s_add_u32 s20, s20, 8
	v_sub_co_ci_u32_e32 v4, vcc_lo, v10, v4, vcc_lo
	s_addc_u32 s21, s21, 0
	s_waitcnt lgkmcnt(0)
	v_mul_lo_u32 v10, s0, v4
	v_mul_lo_u32 v12, s1, v9
	v_mad_u64_u32 v[7:8], null, s0, v9, v[7:8]
	v_mul_lo_u32 v4, s24, v4
	v_mul_lo_u32 v13, s25, v9
	v_mad_u64_u32 v[1:2], null, s24, v9, v[1:2]
	v_cmp_ge_u64_e64 s0, s[22:23], s[14:15]
	v_add3_u32 v8, v12, v8, v10
	v_add3_u32 v2, v13, v2, v4
	s_and_b32 vcc_lo, exec_lo, s0
	s_cbranch_vccnz .LBB0_9
; %bb.7:                                ;   in Loop: Header=BB0_2 Depth=1
	v_mov_b32_e32 v10, v6
	v_mov_b32_e32 v9, v5
	s_branch .LBB0_2
.LBB0_8:
	v_mov_b32_e32 v1, v7
	v_mov_b32_e32 v5, v9
	;; [unrolled: 1-line block ×4, first 2 shown]
.LBB0_9:
	s_load_dwordx2 s[0:1], s[4:5], 0x28
	v_and_b32_e32 v3, 1, v11
	v_mul_hi_u32 v9, 0x3483484, v0
	s_lshl_b64 s[4:5], s[14:15], 3
	s_add_u32 s2, s18, s4
	s_addc_u32 s3, s19, s5
	s_waitcnt lgkmcnt(0)
	v_cmp_gt_u64_e32 vcc_lo, s[0:1], v[5:6]
	v_cmp_le_u64_e64 s1, s[0:1], v[5:6]
	v_cmp_eq_u32_e64 s0, 1, v3
                                        ; implicit-def: $vgpr3
	s_and_saveexec_b32 s6, s1
	s_xor_b32 s1, exec_lo, s6
; %bb.10:
	v_mul_u32_u24_e32 v3, 0x4e, v9
                                        ; implicit-def: $vgpr9
                                        ; implicit-def: $vgpr7_vgpr8
	v_sub_nc_u32_e32 v3, v0, v3
                                        ; implicit-def: $vgpr0
; %bb.11:
	s_or_saveexec_b32 s1, s1
	s_load_dwordx2 s[2:3], s[2:3], 0x0
	v_cndmask_b32_e64 v4, 0, 0x3f7, s0
	v_lshlrev_b32_e32 v24, 2, v4
	s_xor_b32 exec_lo, exec_lo, s1
	s_cbranch_execz .LBB0_15
; %bb.12:
	s_add_u32 s4, s16, s4
	s_addc_u32 s5, s17, s5
	v_lshlrev_b64 v[7:8], 2, v[7:8]
	s_load_dwordx2 s[4:5], s[4:5], 0x0
	s_waitcnt lgkmcnt(0)
	v_mul_lo_u32 v3, s5, v5
	v_mul_lo_u32 v12, s4, v6
	v_mad_u64_u32 v[10:11], null, s4, v5, 0
	s_mov_b32 s4, exec_lo
	v_add3_u32 v11, v11, v12, v3
	v_mul_u32_u24_e32 v3, 0x4e, v9
	v_lshlrev_b64 v[9:10], 2, v[10:11]
	v_sub_nc_u32_e32 v3, v0, v3
	v_lshlrev_b32_e32 v12, 2, v3
	v_add_co_u32 v0, s0, s8, v9
	v_add_co_ci_u32_e64 v9, s0, s9, v10, s0
	v_add_co_u32 v0, s0, v0, v7
	v_add_co_ci_u32_e64 v7, s0, v9, v8, s0
	v_add_co_u32 v8, s0, v0, v12
	v_add_co_ci_u32_e64 v9, s0, 0, v7, s0
	v_add_co_u32 v10, s0, 0x800, v8
	v_add_co_ci_u32_e64 v11, s0, 0, v9, s0
	s_clause 0xc
	global_load_dword v13, v[8:9], off
	global_load_dword v14, v[8:9], off offset:312
	global_load_dword v15, v[8:9], off offset:624
	global_load_dword v16, v[8:9], off offset:936
	global_load_dword v17, v[8:9], off offset:1248
	global_load_dword v18, v[8:9], off offset:1560
	global_load_dword v9, v[8:9], off offset:1872
	global_load_dword v19, v[10:11], off offset:136
	global_load_dword v20, v[10:11], off offset:448
	global_load_dword v21, v[10:11], off offset:760
	global_load_dword v22, v[10:11], off offset:1072
	global_load_dword v23, v[10:11], off offset:1384
	global_load_dword v10, v[10:11], off offset:1696
	v_add3_u32 v8, 0, v24, v12
	v_add_nc_u32_e32 v11, 0x400, v8
	v_add_nc_u32_e32 v12, 0x600, v8
	v_add_nc_u32_e32 v25, 0x800, v8
	v_add_nc_u32_e32 v26, 0xc00, v8
	s_waitcnt vmcnt(11)
	ds_write2_b32 v8, v13, v14 offset1:78
	s_waitcnt vmcnt(9)
	ds_write2_b32 v8, v15, v16 offset0:156 offset1:234
	s_waitcnt vmcnt(7)
	ds_write2_b32 v11, v17, v18 offset0:56 offset1:134
	s_waitcnt vmcnt(5)
	ds_write2_b32 v12, v9, v19 offset0:84 offset1:162
	s_waitcnt vmcnt(3)
	ds_write2_b32 v25, v20, v21 offset0:112 offset1:190
	s_waitcnt vmcnt(1)
	ds_write2_b32 v26, v22, v23 offset0:12 offset1:90
	s_waitcnt vmcnt(0)
	ds_write_b32 v8, v10 offset:3744
	v_cmpx_eq_u32_e32 0x4d, v3
	s_cbranch_execz .LBB0_14
; %bb.13:
	v_add_co_u32 v9, s0, 0x800, v0
	v_add_co_ci_u32_e64 v10, s0, 0, v7, s0
	v_mov_b32_e32 v3, 0x4d
	global_load_dword v0, v[9:10], off offset:2008
	s_waitcnt vmcnt(0)
	ds_write_b32 v8, v0 offset:3748
.LBB0_14:
	s_or_b32 exec_lo, exec_lo, s4
.LBB0_15:
	s_or_b32 exec_lo, exec_lo, s1
	v_lshl_add_u32 v0, v4, 2, 0
	v_lshlrev_b32_e32 v9, 2, v3
	s_waitcnt lgkmcnt(0)
	s_barrier
	buffer_gl0_inv
	s_add_u32 s1, s12, 0xfa4
	v_add_nc_u32_e32 v23, v0, v9
	v_sub_nc_u32_e32 v10, v0, v9
	s_addc_u32 s4, s13, 0
	s_mov_b32 s5, exec_lo
	ds_read_u16 v13, v23
	ds_read_u16 v14, v10 offset:4056
                                        ; implicit-def: $vgpr7_vgpr8
	s_waitcnt lgkmcnt(0)
	v_add_f16_e32 v12, v14, v13
	v_sub_f16_e32 v11, v13, v14
	v_cmpx_ne_u32_e32 0, v3
	s_xor_b32 s5, exec_lo, s5
	s_cbranch_execz .LBB0_17
; %bb.16:
	v_mov_b32_e32 v4, 0
	v_add_f16_e32 v12, v14, v13
	v_sub_f16_e32 v13, v13, v14
	v_lshlrev_b64 v[7:8], 2, v[3:4]
	v_add_co_u32 v7, s0, s1, v7
	v_add_co_ci_u32_e64 v8, s0, s4, v8, s0
	global_load_dword v7, v[7:8], off
	ds_read_u16 v8, v10 offset:4058
	ds_read_u16 v11, v23 offset:2
	s_waitcnt lgkmcnt(0)
	v_add_f16_e32 v14, v8, v11
	v_sub_f16_e32 v8, v11, v8
	s_waitcnt vmcnt(0)
	v_lshrrev_b32_e32 v15, 16, v7
	v_fma_f16 v16, -v13, v15, v12
	v_fma_f16 v17, v14, v15, -v8
	v_fma_f16 v11, v14, v15, v8
	v_fma_f16 v12, v13, v15, v12
	v_fmac_f16_e32 v16, v7, v14
	v_fmac_f16_e32 v17, v13, v7
	;; [unrolled: 1-line block ×3, first 2 shown]
	v_fma_f16 v12, -v7, v14, v12
	v_mov_b32_e32 v8, v4
	v_mov_b32_e32 v7, v3
	v_pack_b32_f16 v13, v16, v17
	ds_write_b32 v10, v13 offset:4056
.LBB0_17:
	s_andn2_saveexec_b32 s0, s5
	s_cbranch_execz .LBB0_19
; %bb.18:
	ds_read_b32 v4, v0 offset:2028
	v_mov_b32_e32 v7, 0
	v_mov_b32_e32 v8, 0
	s_waitcnt lgkmcnt(0)
	v_pk_mul_f16 v4, 0xc0004000, v4
	ds_write_b32 v0, v4 offset:2028
.LBB0_19:
	s_or_b32 exec_lo, exec_lo, s0
	v_lshlrev_b64 v[7:8], 2, v[7:8]
	v_perm_b32 v11, v11, v12, 0x5040100
	v_add_co_u32 v7, s0, s1, v7
	v_add_co_ci_u32_e64 v8, s0, s4, v8, s0
	s_mov_b32 s1, exec_lo
	s_clause 0x4
	global_load_dword v4, v[7:8], off offset:312
	global_load_dword v13, v[7:8], off offset:624
	;; [unrolled: 1-line block ×5, first 2 shown]
	ds_write_b32 v23, v11
	ds_read_b32 v11, v23 offset:312
	ds_read_b32 v12, v10 offset:3744
	s_waitcnt lgkmcnt(0)
	v_add_f16_e32 v17, v11, v12
	v_add_f16_sdwa v18, v12, v11 dst_sel:DWORD dst_unused:UNUSED_PAD src0_sel:WORD_1 src1_sel:WORD_1
	v_sub_f16_e32 v19, v11, v12
	v_sub_f16_sdwa v11, v11, v12 dst_sel:DWORD dst_unused:UNUSED_PAD src0_sel:WORD_1 src1_sel:WORD_1
	s_waitcnt vmcnt(4)
	v_lshrrev_b32_e32 v20, 16, v4
	v_fma_f16 v12, v19, v20, v17
	v_fma_f16 v21, v18, v20, v11
	v_fma_f16 v17, -v19, v20, v17
	v_fma_f16 v11, v18, v20, -v11
	v_fma_f16 v12, -v4, v18, v12
	v_fmac_f16_e32 v21, v19, v4
	v_fmac_f16_e32 v17, v4, v18
	;; [unrolled: 1-line block ×3, first 2 shown]
	v_pack_b32_f16 v4, v12, v21
	s_waitcnt vmcnt(3)
	v_lshrrev_b32_e32 v12, 16, v13
	v_pack_b32_f16 v11, v17, v11
	ds_write_b32 v23, v4 offset:312
	ds_write_b32 v10, v11 offset:3744
	ds_read_b32 v4, v23 offset:624
	ds_read_b32 v11, v10 offset:3432
	s_waitcnt lgkmcnt(0)
	v_add_f16_e32 v17, v4, v11
	v_add_f16_sdwa v18, v11, v4 dst_sel:DWORD dst_unused:UNUSED_PAD src0_sel:WORD_1 src1_sel:WORD_1
	v_sub_f16_e32 v19, v4, v11
	v_sub_f16_sdwa v4, v4, v11 dst_sel:DWORD dst_unused:UNUSED_PAD src0_sel:WORD_1 src1_sel:WORD_1
	v_fma_f16 v11, v19, v12, v17
	v_fma_f16 v20, v18, v12, v4
	v_fma_f16 v17, -v19, v12, v17
	v_fma_f16 v4, v18, v12, -v4
	s_waitcnt vmcnt(2)
	v_lshrrev_b32_e32 v12, 16, v14
	v_fma_f16 v11, -v13, v18, v11
	v_fmac_f16_e32 v20, v19, v13
	v_fmac_f16_e32 v17, v13, v18
	v_fmac_f16_e32 v4, v19, v13
	v_pack_b32_f16 v11, v11, v20
	v_pack_b32_f16 v4, v17, v4
	ds_write_b32 v23, v11 offset:624
	ds_write_b32 v10, v4 offset:3432
	ds_read_b32 v4, v23 offset:936
	ds_read_b32 v11, v10 offset:3120
	s_waitcnt lgkmcnt(0)
	v_add_f16_e32 v13, v4, v11
	v_add_f16_sdwa v17, v11, v4 dst_sel:DWORD dst_unused:UNUSED_PAD src0_sel:WORD_1 src1_sel:WORD_1
	v_sub_f16_e32 v18, v4, v11
	v_sub_f16_sdwa v4, v4, v11 dst_sel:DWORD dst_unused:UNUSED_PAD src0_sel:WORD_1 src1_sel:WORD_1
	v_fma_f16 v11, v18, v12, v13
	v_fma_f16 v19, v17, v12, v4
	v_fma_f16 v13, -v18, v12, v13
	v_fma_f16 v4, v17, v12, -v4
	s_waitcnt vmcnt(1)
	v_lshrrev_b32_e32 v12, 16, v15
	v_fma_f16 v11, -v14, v17, v11
	v_fmac_f16_e32 v19, v18, v14
	v_fmac_f16_e32 v13, v14, v17
	v_fmac_f16_e32 v4, v18, v14
	v_pack_b32_f16 v11, v11, v19
	;; [unrolled: 21-line block ×3, first 2 shown]
	v_pack_b32_f16 v4, v13, v4
	ds_write_b32 v23, v11 offset:1248
	ds_write_b32 v10, v4 offset:2808
	ds_read_b32 v4, v23 offset:1560
	ds_read_b32 v11, v10 offset:2496
	s_waitcnt lgkmcnt(0)
	v_add_f16_e32 v13, v4, v11
	v_add_f16_sdwa v14, v11, v4 dst_sel:DWORD dst_unused:UNUSED_PAD src0_sel:WORD_1 src1_sel:WORD_1
	v_sub_f16_e32 v15, v4, v11
	v_sub_f16_sdwa v4, v4, v11 dst_sel:DWORD dst_unused:UNUSED_PAD src0_sel:WORD_1 src1_sel:WORD_1
	v_fma_f16 v11, v15, v12, v13
	v_fma_f16 v17, v14, v12, v4
	v_fma_f16 v13, -v15, v12, v13
	v_fma_f16 v4, v14, v12, -v4
	v_fma_f16 v11, -v16, v14, v11
	v_fmac_f16_e32 v17, v15, v16
	v_fmac_f16_e32 v13, v16, v14
	v_fmac_f16_e32 v4, v15, v16
	v_pack_b32_f16 v11, v11, v17
	v_pack_b32_f16 v4, v13, v4
	ds_write_b32 v23, v11 offset:1560
	ds_write_b32 v10, v4 offset:2496
	v_cmpx_gt_u32_e32 39, v3
	s_cbranch_execz .LBB0_21
; %bb.20:
	global_load_dword v4, v[7:8], off offset:1872
	ds_read_b32 v7, v23 offset:1872
	ds_read_b32 v8, v10 offset:2184
	s_waitcnt lgkmcnt(0)
	v_add_f16_e32 v11, v7, v8
	v_add_f16_sdwa v12, v8, v7 dst_sel:DWORD dst_unused:UNUSED_PAD src0_sel:WORD_1 src1_sel:WORD_1
	v_sub_f16_e32 v13, v7, v8
	v_sub_f16_sdwa v7, v7, v8 dst_sel:DWORD dst_unused:UNUSED_PAD src0_sel:WORD_1 src1_sel:WORD_1
	s_waitcnt vmcnt(0)
	v_lshrrev_b32_e32 v14, 16, v4
	v_fma_f16 v8, v13, v14, v11
	v_fma_f16 v15, v12, v14, v7
	v_fma_f16 v11, -v13, v14, v11
	v_fma_f16 v7, v12, v14, -v7
	v_fma_f16 v8, -v4, v12, v8
	v_fmac_f16_e32 v15, v13, v4
	v_fmac_f16_e32 v11, v4, v12
	;; [unrolled: 1-line block ×3, first 2 shown]
	v_pack_b32_f16 v4, v8, v15
	v_pack_b32_f16 v7, v11, v7
	ds_write_b32 v23, v4 offset:1872
	ds_write_b32 v10, v7 offset:2184
.LBB0_21:
	s_or_b32 exec_lo, exec_lo, s1
	v_add3_u32 v4, 0, v9, v24
	s_waitcnt lgkmcnt(0)
	s_barrier
	buffer_gl0_inv
	s_barrier
	buffer_gl0_inv
	ds_read_b32 v7, v23
	ds_read2_b32 v[13:14], v4 offset0:78 offset1:156
	v_add_nc_u32_e32 v9, 0xc00, v4
	v_add_nc_u32_e32 v8, 0x200, v4
	ds_read2_b32 v[32:33], v9 offset0:90 offset1:168
	ds_read2_b32 v[34:35], v8 offset0:106 offset1:184
	v_add_nc_u32_e32 v12, 0x400, v4
	v_add_nc_u32_e32 v11, 0x800, v4
	;; [unrolled: 1-line block ×3, first 2 shown]
	ds_read2_b32 v[36:37], v12 offset0:134 offset1:212
	ds_read2_b32 v[38:39], v11 offset0:34 offset1:112
	;; [unrolled: 1-line block ×3, first 2 shown]
	v_mov_b32_e32 v29, 0xba95
	v_mov_b32_e32 v19, 0x388b
	;; [unrolled: 1-line block ×7, first 2 shown]
	s_waitcnt lgkmcnt(5)
	v_pk_add_f16 v15, v7, v13
	v_mov_b32_e32 v61, 0xb3a8
	v_mov_b32_e32 v63, 0xbbc4
	;; [unrolled: 1-line block ×3, first 2 shown]
	s_waitcnt lgkmcnt(0)
	v_pk_add_f16 v15, v15, v14
	v_pk_add_f16 v17, v13, v33 neg_lo:[0,1] neg_hi:[0,1]
	v_pk_add_f16 v21, v33, v13
	v_pk_add_f16 v20, v32, v14
	v_pk_add_f16 v18, v14, v32 neg_lo:[0,1] neg_hi:[0,1]
	v_pk_add_f16 v13, v15, v34
	v_mul_f16_sdwa v15, v17, v29 dst_sel:DWORD dst_unused:UNUSED_PAD src0_sel:WORD_1 src1_sel:DWORD
	v_pk_mul_f16 v14, 0xb770, v17 op_sel_hi:[0,1]
	v_mul_f16_sdwa v26, v21, v19 dst_sel:DWORD dst_unused:UNUSED_PAD src0_sel:WORD_1 src1_sel:DWORD
	v_mul_f16_sdwa v16, v17, v42 dst_sel:DWORD dst_unused:UNUSED_PAD src0_sel:WORD_1 src1_sel:DWORD
	v_pk_add_f16 v44, v13, v35
	v_fmamk_f16 v47, v21, 0x388b, v15
	v_fma_f16 v49, v21, 0x388b, -v15
	v_mul_f16_sdwa v28, v21, v31 dst_sel:DWORD dst_unused:UNUSED_PAD src0_sel:WORD_1 src1_sel:DWORD
	v_mul_f16_sdwa v30, v17, v25 dst_sel:DWORD dst_unused:UNUSED_PAD src0_sel:WORD_1 src1_sel:DWORD
	v_pk_add_f16 v44, v44, v36
	v_pk_mul_f16 v46, 0xba95, v18 op_sel_hi:[0,1]
	v_pk_fma_f16 v13, 0x3b15, v21, v14 op_sel:[0,0,1] op_sel_hi:[0,1,0]
	v_pk_fma_f16 v14, 0x3b15, v21, v14 op_sel:[0,0,1] op_sel_hi:[0,1,0] neg_lo:[0,0,1] neg_hi:[0,0,1]
	v_fmamk_f16 v48, v17, 0x3a95, v26
	v_pk_add_f16 v15, v44, v37
	v_fmac_f16_e32 v26, 0xba95, v17
	v_mul_f16_sdwa v45, v17, v27 dst_sel:DWORD dst_unused:UNUSED_PAD src0_sel:WORD_1 src1_sel:DWORD
	v_fmamk_f16 v44, v21, 0x2fb7, v16
	v_fmamk_f16 v50, v17, 0x3bf1, v28
	v_pk_add_f16 v15, v15, v38
	v_fma_f16 v51, v21, 0x2fb7, -v16
	v_fmac_f16_e32 v28, 0xbbf1, v17
	v_fmamk_f16 v52, v21, 0xb5ac, v30
	v_fma_f16 v30, v21, 0xb5ac, -v30
	v_pk_add_f16 v54, v15, v39
	v_pk_fma_f16 v15, 0x388b, v20, v46 op_sel:[0,0,1] op_sel_hi:[0,1,0]
	v_pk_fma_f16 v16, 0x388b, v20, v46 op_sel:[0,0,1] op_sel_hi:[0,1,0] neg_lo:[0,0,1] neg_hi:[0,0,1]
	v_bfi_b32 v46, 0xffff, v13, v14
	v_add_f16_sdwa v55, v7, v26 dst_sel:DWORD dst_unused:UNUSED_PAD src0_sel:WORD_1 src1_sel:DWORD
	v_pk_add_f16 v54, v54, v40
	v_add_f16_e32 v56, v7, v30
	v_fmamk_f16 v30, v21, 0xb9fd, v45
	v_add_f16_e32 v47, v7, v47
	v_add_f16_sdwa v48, v7, v48 dst_sel:DWORD dst_unused:UNUSED_PAD src0_sel:WORD_1 src1_sel:DWORD
	v_pk_add_f16 v26, v54, v41
	v_add_f16_sdwa v54, v7, v28 dst_sel:DWORD dst_unused:UNUSED_PAD src0_sel:WORD_1 src1_sel:DWORD
	v_pk_add_f16 v28, v7, v46
	v_mul_f16_sdwa v46, v20, v22 dst_sel:DWORD dst_unused:UNUSED_PAD src0_sel:WORD_1 src1_sel:DWORD
	v_bfi_b32 v57, 0xffff, v15, v16
	v_pk_add_f16 v26, v26, v32
	v_mul_f16_sdwa v32, v18, v25 dst_sel:DWORD dst_unused:UNUSED_PAD src0_sel:WORD_1 src1_sel:DWORD
	v_add_f16_e32 v58, v7, v30
	v_fmamk_f16 v59, v18, 0x3b7b, v46
	v_mul_f16_sdwa v62, v18, v61 dst_sel:DWORD dst_unused:UNUSED_PAD src0_sel:WORD_1 src1_sel:DWORD
	v_add_f16_e32 v49, v7, v49
	v_fmamk_f16 v30, v20, 0xb5ac, v32
	v_add_f16_e32 v44, v7, v44
	v_pk_add_f16 v57, v57, v28
	v_add_f16_e32 v48, v59, v48
	v_fma_f16 v59, v20, 0xb5ac, -v32
	v_add_f16_e32 v47, v30, v47
	v_fmac_f16_e32 v46, 0xbb7b, v18
	v_pk_add_f16 v30, v41, v34
	v_pk_add_f16 v28, v34, v41 neg_lo:[0,1] neg_hi:[0,1]
	v_pk_add_f16 v34, v40, v35
	v_pk_add_f16 v32, v35, v40 neg_lo:[0,1] neg_hi:[0,1]
	;; [unrolled: 2-line block ×4, first 2 shown]
	v_mul_f16_sdwa v38, v20, v63 dst_sel:DWORD dst_unused:UNUSED_PAD src0_sel:WORD_1 src1_sel:DWORD
	v_fmamk_f16 v40, v20, 0xbbc4, v62
	v_mov_b32_e32 v41, 0x394e
	v_mul_f16_sdwa v43, v21, v22 dst_sel:DWORD dst_unused:UNUSED_PAD src0_sel:WORD_1 src1_sel:DWORD
	v_add_f16_sdwa v50, v7, v50 dst_sel:DWORD dst_unused:UNUSED_PAD src0_sel:WORD_1 src1_sel:DWORD
	v_add_f16_e32 v51, v7, v51
	v_pk_add_f16 v26, v26, v33
	v_mov_b32_e32 v33, 0xb9fd
	v_add_f16_e32 v49, v59, v49
	v_add_f16_e32 v46, v46, v55
	v_fmamk_f16 v55, v18, 0x33a8, v38
	v_add_f16_e32 v40, v40, v44
	v_mul_f16_sdwa v44, v18, v41 dst_sel:DWORD dst_unused:UNUSED_PAD src0_sel:WORD_1 src1_sel:DWORD
	v_fma_f16 v59, v20, 0xbbc4, -v62
	v_fmamk_f16 v53, v17, 0x3b7b, v43
	v_add_f16_e32 v52, v7, v52
	v_fmac_f16_e32 v38, 0xb3a8, v18
	v_add_f16_e32 v50, v55, v50
	v_mul_f16_sdwa v55, v20, v33 dst_sel:DWORD dst_unused:UNUSED_PAD src0_sel:WORD_1 src1_sel:DWORD
	v_fmamk_f16 v62, v20, 0xb9fd, v44
	v_add_f16_e32 v51, v59, v51
	v_mov_b32_e32 v59, 0x3bf1
	v_fmac_f16_e32 v43, 0xbb7b, v17
	v_add_f16_sdwa v53, v7, v53 dst_sel:DWORD dst_unused:UNUSED_PAD src0_sel:WORD_1 src1_sel:DWORD
	v_mul_f16_sdwa v60, v21, v33 dst_sel:DWORD dst_unused:UNUSED_PAD src0_sel:WORD_1 src1_sel:DWORD
	v_add_f16_e32 v38, v38, v54
	v_fmamk_f16 v54, v18, 0xb94e, v55
	v_add_f16_e32 v52, v62, v52
	v_fma_f16 v44, v20, 0xb9fd, -v44
	v_mul_f16_sdwa v62, v18, v59 dst_sel:DWORD dst_unused:UNUSED_PAD src0_sel:WORD_1 src1_sel:DWORD
	v_add_f16_sdwa v43, v7, v43 dst_sel:DWORD dst_unused:UNUSED_PAD src0_sel:WORD_1 src1_sel:DWORD
	v_fmac_f16_e32 v55, 0x394e, v18
	v_add_f16_e32 v53, v54, v53
	v_fmamk_f16 v54, v17, 0x394e, v60
	v_add_f16_e32 v44, v44, v56
	v_fmamk_f16 v56, v20, 0x2fb7, v62
	v_mul_f16_sdwa v64, v20, v31 dst_sel:DWORD dst_unused:UNUSED_PAD src0_sel:WORD_1 src1_sel:DWORD
	v_add_f16_e32 v43, v55, v43
	v_fma_f16 v45, v21, 0xb9fd, -v45
	v_add_f16_sdwa v54, v7, v54 dst_sel:DWORD dst_unused:UNUSED_PAD src0_sel:WORD_1 src1_sel:DWORD
	v_add_f16_e32 v55, v56, v58
	v_fmamk_f16 v56, v18, 0xbbf1, v64
	v_fmac_f16_e32 v60, 0xb94e, v17
	v_pk_mul_f16 v58, 0xbbf1, v28 op_sel_hi:[0,1]
	v_add_f16_e32 v45, v7, v45
	v_fma_f16 v62, v20, 0x2fb7, -v62
	v_add_f16_e32 v54, v56, v54
	v_add_f16_sdwa v56, v7, v60 dst_sel:DWORD dst_unused:UNUSED_PAD src0_sel:WORD_1 src1_sel:DWORD
	v_fmac_f16_e32 v64, 0x3bf1, v18
	v_pk_fma_f16 v60, 0x2fb7, v30, v58 op_sel:[0,0,1] op_sel_hi:[0,1,0]
	v_pk_fma_f16 v58, 0x2fb7, v30, v58 op_sel:[0,0,1] op_sel_hi:[0,1,0] neg_lo:[0,0,1] neg_hi:[0,0,1]
	v_add_f16_e32 v45, v62, v45
	v_mul_f16_sdwa v61, v28, v61 dst_sel:DWORD dst_unused:UNUSED_PAD src0_sel:WORD_1 src1_sel:DWORD
	v_mul_f16_sdwa v62, v30, v63 dst_sel:DWORD dst_unused:UNUSED_PAD src0_sel:WORD_1 src1_sel:DWORD
	v_add_f16_e32 v56, v64, v56
	v_bfi_b32 v64, 0xffff, v60, v58
	v_mul_f16_sdwa v41, v32, v41 dst_sel:DWORD dst_unused:UNUSED_PAD src0_sel:WORD_1 src1_sel:DWORD
	v_fmamk_f16 v66, v30, 0xbbc4, v61
	v_fmamk_f16 v67, v28, 0x33a8, v62
	v_fma_f16 v61, v30, 0xbbc4, -v61
	v_pk_add_f16 v57, v64, v57
	v_mul_f16_sdwa v64, v28, v65 dst_sel:DWORD dst_unused:UNUSED_PAD src0_sel:WORD_1 src1_sel:DWORD
	v_add_f16_e32 v47, v66, v47
	v_add_f16_e32 v48, v67, v48
	;; [unrolled: 1-line block ×3, first 2 shown]
	v_fmac_f16_e32 v62, 0xb3a8, v28
	v_fmamk_f16 v61, v30, 0xb5ac, v64
	v_mul_f16_sdwa v65, v30, v22 dst_sel:DWORD dst_unused:UNUSED_PAD src0_sel:WORD_1 src1_sel:DWORD
	v_mov_b32_e32 v66, 0x3770
	v_mov_b32_e32 v67, 0x3b15
	v_add_f16_e32 v46, v62, v46
	v_add_f16_e32 v40, v61, v40
	v_fmamk_f16 v61, v28, 0xbb7b, v65
	v_mul_f16_sdwa v62, v28, v66 dst_sel:DWORD dst_unused:UNUSED_PAD src0_sel:WORD_1 src1_sel:DWORD
	v_mul_f16_sdwa v68, v30, v67 dst_sel:DWORD dst_unused:UNUSED_PAD src0_sel:WORD_1 src1_sel:DWORD
	v_fma_f16 v64, v30, 0xb5ac, -v64
	v_fmac_f16_e32 v65, 0x3b7b, v28
	v_add_f16_e32 v50, v61, v50
	v_fmamk_f16 v61, v30, 0x3b15, v62
	v_fmamk_f16 v69, v28, 0xb770, v68
	v_add_f16_e32 v51, v64, v51
	v_mul_f16_sdwa v64, v28, v29 dst_sel:DWORD dst_unused:UNUSED_PAD src0_sel:WORD_1 src1_sel:DWORD
	v_add_f16_e32 v38, v65, v38
	v_add_f16_e32 v52, v61, v52
	;; [unrolled: 1-line block ×3, first 2 shown]
	v_fma_f16 v61, v30, 0x3b15, -v62
	v_fmac_f16_e32 v68, 0x3770, v28
	v_fmamk_f16 v62, v30, 0x388b, v64
	v_mul_f16_sdwa v65, v30, v19 dst_sel:DWORD dst_unused:UNUSED_PAD src0_sel:WORD_1 src1_sel:DWORD
	v_pk_mul_f16 v69, 0xbb7b, v32 op_sel_hi:[0,1]
	v_fma_f16 v64, v30, 0x388b, -v64
	v_add_f16_e32 v44, v61, v44
	v_add_f16_e32 v43, v68, v43
	;; [unrolled: 1-line block ×3, first 2 shown]
	v_fmamk_f16 v61, v28, 0x3a95, v65
	v_pk_fma_f16 v62, 0xb5ac, v34, v69 op_sel:[0,0,1] op_sel_hi:[0,1,0]
	v_pk_fma_f16 v68, 0xb5ac, v34, v69 op_sel:[0,0,1] op_sel_hi:[0,1,0] neg_lo:[0,0,1] neg_hi:[0,0,1]
	v_fmac_f16_e32 v65, 0xba95, v28
	v_fmamk_f16 v69, v34, 0xb9fd, v41
	v_add_f16_e32 v45, v64, v45
	v_mul_f16_sdwa v64, v34, v33 dst_sel:DWORD dst_unused:UNUSED_PAD src0_sel:WORD_1 src1_sel:DWORD
	v_add_f16_e32 v54, v61, v54
	v_bfi_b32 v61, 0xffff, v62, v68
	v_add_f16_e32 v56, v65, v56
	v_add_f16_e32 v47, v69, v47
	v_fmamk_f16 v65, v32, 0xb94e, v64
	v_mul_f16_sdwa v69, v34, v67 dst_sel:DWORD dst_unused:UNUSED_PAD src0_sel:WORD_1 src1_sel:DWORD
	v_pk_add_f16 v57, v61, v57
	v_mul_f16_sdwa v61, v32, v66 dst_sel:DWORD dst_unused:UNUSED_PAD src0_sel:WORD_1 src1_sel:DWORD
	v_fma_f16 v41, v34, 0xb9fd, -v41
	v_add_f16_e32 v48, v65, v48
	v_fmamk_f16 v65, v32, 0xb770, v69
	v_fmac_f16_e32 v64, 0x394e, v32
	v_fmamk_f16 v70, v34, 0x3b15, v61
	v_add_f16_e32 v41, v41, v49
	v_mul_f16_sdwa v42, v32, v42 dst_sel:DWORD dst_unused:UNUSED_PAD src0_sel:WORD_1 src1_sel:DWORD
	v_add_f16_e32 v49, v65, v50
	v_mul_f16_sdwa v50, v34, v31 dst_sel:DWORD dst_unused:UNUSED_PAD src0_sel:WORD_1 src1_sel:DWORD
	v_fma_f16 v61, v34, 0x3b15, -v61
	v_mov_b32_e32 v65, 0x33a8
	v_add_f16_e32 v46, v64, v46
	v_add_f16_e32 v40, v70, v40
	v_fmac_f16_e32 v69, 0x3770, v32
	v_fmamk_f16 v64, v34, 0x2fb7, v42
	v_fmamk_f16 v70, v32, 0x3bf1, v50
	v_add_f16_e32 v51, v61, v51
	v_mul_f16_sdwa v61, v32, v65 dst_sel:DWORD dst_unused:UNUSED_PAD src0_sel:WORD_1 src1_sel:DWORD
	v_add_f16_e32 v38, v69, v38
	v_add_f16_e32 v52, v64, v52
	;; [unrolled: 1-line block ×3, first 2 shown]
	v_fma_f16 v42, v34, 0x2fb7, -v42
	v_fmac_f16_e32 v50, 0xbbf1, v32
	v_mul_f16_sdwa v64, v34, v63 dst_sel:DWORD dst_unused:UNUSED_PAD src0_sel:WORD_1 src1_sel:DWORD
	v_fmamk_f16 v69, v34, 0xbbc4, v61
	v_pk_mul_f16 v70, 0xb94e, v36 op_sel_hi:[0,1]
	v_add_f16_e32 v42, v42, v44
	v_add_f16_e32 v43, v50, v43
	v_fmamk_f16 v44, v32, 0xb3a8, v64
	v_add_f16_e32 v50, v69, v55
	v_pk_fma_f16 v55, 0xb9fd, v35, v70 op_sel:[0,0,1] op_sel_hi:[0,1,0]
	v_pk_fma_f16 v69, 0xb9fd, v35, v70 op_sel:[0,0,1] op_sel_hi:[0,1,0] neg_lo:[0,0,1] neg_hi:[0,0,1]
	v_fma_f16 v61, v34, 0xbbc4, -v61
	v_add_f16_e32 v44, v44, v54
	v_mul_f16_sdwa v54, v36, v59 dst_sel:DWORD dst_unused:UNUSED_PAD src0_sel:WORD_1 src1_sel:DWORD
	v_mul_f16_sdwa v31, v35, v31 dst_sel:DWORD dst_unused:UNUSED_PAD src0_sel:WORD_1 src1_sel:DWORD
	v_bfi_b32 v59, 0xffff, v55, v69
	v_add_f16_e32 v45, v61, v45
	v_mul_f16_sdwa v29, v36, v29 dst_sel:DWORD dst_unused:UNUSED_PAD src0_sel:WORD_1 src1_sel:DWORD
	v_fmamk_f16 v61, v35, 0x2fb7, v54
	v_fma_f16 v54, v35, 0x2fb7, -v54
	v_pk_add_f16 v57, v59, v57
	v_fmamk_f16 v59, v36, 0xbbf1, v31
	v_fmac_f16_e32 v31, 0x3bf1, v36
	v_add_f16_e32 v47, v61, v47
	v_fmamk_f16 v61, v35, 0x388b, v29
	v_add_f16_e32 v41, v54, v41
	v_add_f16_e32 v48, v59, v48
	v_mul_f16_sdwa v59, v35, v19 dst_sel:DWORD dst_unused:UNUSED_PAD src0_sel:WORD_1 src1_sel:DWORD
	v_fma_f16 v29, v35, 0x388b, -v29
	v_add_f16_e32 v40, v61, v40
	v_mul_f16_sdwa v61, v35, v63 dst_sel:DWORD dst_unused:UNUSED_PAD src0_sel:WORD_1 src1_sel:DWORD
	v_fmac_f16_e32 v64, 0x33a8, v32
	v_fmamk_f16 v54, v36, 0x3a95, v59
	v_add_f16_e32 v31, v31, v46
	v_mul_f16_sdwa v46, v36, v65 dst_sel:DWORD dst_unused:UNUSED_PAD src0_sel:WORD_1 src1_sel:DWORD
	v_add_f16_e32 v29, v29, v51
	v_fmamk_f16 v51, v36, 0xb3a8, v61
	v_add_f16_e32 v49, v54, v49
	v_mul_f16_sdwa v54, v36, v66 dst_sel:DWORD dst_unused:UNUSED_PAD src0_sel:WORD_1 src1_sel:DWORD
	v_add_f16_e32 v56, v64, v56
	v_fmac_f16_e32 v59, 0xba95, v36
	v_fmamk_f16 v63, v35, 0xbbc4, v46
	v_add_f16_e32 v51, v51, v53
	v_fma_f16 v46, v35, 0xbbc4, -v46
	v_fmamk_f16 v53, v35, 0x3b15, v54
	v_pk_mul_f16 v64, 0xb3a8, v37 op_sel_hi:[0,1]
	v_add_f16_e32 v38, v59, v38
	v_mul_f16_sdwa v59, v35, v67 dst_sel:DWORD dst_unused:UNUSED_PAD src0_sel:WORD_1 src1_sel:DWORD
	v_fmac_f16_e32 v61, 0x33a8, v36
	v_add_f16_e32 v42, v46, v42
	v_add_f16_e32 v46, v53, v50
	v_pk_fma_f16 v50, 0xbbc4, v39, v64 op_sel:[0,0,1] op_sel_hi:[0,1,0]
	v_pk_fma_f16 v53, 0xbbc4, v39, v64 op_sel:[0,0,1] op_sel_hi:[0,1,0] neg_lo:[0,0,1] neg_hi:[0,0,1]
	v_add_f16_e32 v52, v63, v52
	v_fmamk_f16 v63, v36, 0xb770, v59
	v_add_f16_e32 v43, v61, v43
	v_mul_f16_sdwa v61, v37, v66 dst_sel:DWORD dst_unused:UNUSED_PAD src0_sel:WORD_1 src1_sel:DWORD
	v_fma_f16 v54, v35, 0x3b15, -v54
	v_fmac_f16_e32 v59, 0x3770, v36
	v_bfi_b32 v64, 0xffff, v50, v53
	v_mul_f16_sdwa v33, v39, v33 dst_sel:DWORD dst_unused:UNUSED_PAD src0_sel:WORD_1 src1_sel:DWORD
	v_mul_f16_sdwa v19, v39, v19 dst_sel:DWORD dst_unused:UNUSED_PAD src0_sel:WORD_1 src1_sel:DWORD
	v_add_f16_e32 v45, v54, v45
	v_add_f16_e32 v54, v59, v56
	v_pk_add_f16 v56, v64, v57
	v_fma_f16 v57, v39, 0x3b15, -v61
	v_mov_b32_e32 v59, 0x3a95
	v_mul_f16_sdwa v27, v37, v27 dst_sel:DWORD dst_unused:UNUSED_PAD src0_sel:WORD_1 src1_sel:DWORD
	v_mul_f16_sdwa v22, v39, v22 dst_sel:DWORD dst_unused:UNUSED_PAD src0_sel:WORD_1 src1_sel:DWORD
	v_add_f16_e32 v44, v63, v44
	v_add_f16_e32 v41, v57, v41
	v_fmamk_f16 v57, v37, 0x394e, v33
	v_mul_f16_sdwa v59, v37, v59 dst_sel:DWORD dst_unused:UNUSED_PAD src0_sel:WORD_1 src1_sel:DWORD
	v_fmac_f16_e32 v33, 0xb94e, v37
	v_mul_f16_sdwa v63, v39, v67 dst_sel:DWORD dst_unused:UNUSED_PAD src0_sel:WORD_1 src1_sel:DWORD
	v_fmamk_f16 v65, v39, 0x3b15, v61
	v_add_f16_e32 v49, v57, v49
	v_fmamk_f16 v57, v39, 0x388b, v59
	v_add_f16_e32 v33, v33, v38
	v_fmamk_f16 v61, v39, 0xb9fd, v27
	v_fma_f16 v27, v39, 0xb9fd, -v27
	v_pk_mul_f16 v21, 0xbbc4, v21 op_sel_hi:[0,1]
	v_add_f16_e32 v38, v57, v52
	v_fmamk_f16 v52, v37, 0xba95, v19
	v_fmac_f16_e32 v19, 0x3a95, v37
	v_fmamk_f16 v66, v37, 0xb770, v63
	v_add_f16_e32 v27, v27, v29
	v_mad_u32_u24 v29, v3, 48, v4
	v_mul_f16_sdwa v25, v37, v25 dst_sel:DWORD dst_unused:UNUSED_PAD src0_sel:WORD_1 src1_sel:DWORD
	v_add_f16_e32 v19, v19, v43
	v_fmamk_f16 v43, v37, 0x3b7b, v22
	v_pk_mul_f16 v20, 0x3b15, v20 op_sel_hi:[0,1]
	v_add_f16_e32 v47, v65, v47
	v_add_f16_e32 v48, v66, v48
	;; [unrolled: 1-line block ×4, first 2 shown]
	v_pk_fma_f16 v44, 0xb3a8, v17, v21 op_sel:[0,0,1] op_sel_hi:[0,1,0]
	v_fmamk_f16 v52, v39, 0xb5ac, v25
	v_fma_f16 v25, v39, 0xb5ac, -v25
	s_barrier
	buffer_gl0_inv
	ds_write2_b32 v29, v26, v56 offset1:1
	v_alignbit_b32 v26, s0, v44, 16
	v_pk_fma_f16 v17, 0xb3a8, v17, v21 op_sel:[0,0,1] op_sel_hi:[0,1,0] neg_lo:[0,1,0] neg_hi:[0,1,0]
	v_pk_fma_f16 v21, 0x3770, v18, v20 op_sel:[0,0,1] op_sel_hi:[0,1,0]
	v_pk_mul_f16 v30, 0xb9fd, v30 op_sel_hi:[0,1]
	v_add_f16_e32 v25, v25, v45
	v_pack_b32_f16 v45, v47, v48
	v_pk_add_f16 v26, v7, v26
	v_alignbit_b32 v47, s0, v7, 16
	v_pk_add_f16 v17, v7, v17 op_sel:[1,0] op_sel_hi:[0,1]
	v_alignbit_b32 v48, s0, v21, 16
	v_pk_fma_f16 v18, 0x3770, v18, v20 op_sel:[0,0,1] op_sel_hi:[0,1,0] neg_lo:[0,1,0] neg_hi:[0,1,0]
	v_pk_fma_f16 v20, 0xb94e, v28, v30 op_sel:[0,0,1] op_sel_hi:[0,1,0]
	v_pk_mul_f16 v34, 0x388b, v34 op_sel_hi:[0,1]
	v_pk_add_f16 v44, v47, v44
	v_pk_add_f16 v26, v48, v26
	;; [unrolled: 1-line block ×3, first 2 shown]
	v_alignbit_b32 v18, s0, v20, 16
	v_pk_fma_f16 v28, 0xb94e, v28, v30 op_sel:[0,0,1] op_sel_hi:[0,1,0] neg_lo:[0,1,0] neg_hi:[0,1,0]
	v_pk_fma_f16 v30, 0x3a95, v32, v34 op_sel:[0,0,1] op_sel_hi:[0,1,0]
	v_pk_mul_f16 v35, 0xb5ac, v35 op_sel_hi:[0,1]
	v_bfi_b32 v13, 0xffff, v14, v13
	v_pk_add_f16 v21, v21, v44
	v_pk_add_f16 v18, v18, v26
	;; [unrolled: 1-line block ×3, first 2 shown]
	v_alignbit_b32 v26, s0, v30, 16
	v_pk_fma_f16 v28, 0x3a95, v32, v34 op_sel:[0,0,1] op_sel_hi:[0,1,0] neg_lo:[0,1,0] neg_hi:[0,1,0]
	v_pk_fma_f16 v32, 0xbb7b, v36, v35 op_sel:[0,0,1] op_sel_hi:[0,1,0]
	v_pk_add_f16 v7, v7, v13
	v_bfi_b32 v13, 0xffff, v16, v15
	v_pk_add_f16 v20, v20, v21
	v_pk_add_f16 v14, v26, v18
	v_alignbit_b32 v18, s0, v32, 16
	v_pk_mul_f16 v21, 0x2fb7, v39 op_sel_hi:[0,1]
	v_pk_add_f16 v7, v13, v7
	v_bfi_b32 v13, 0xffff, v58, v60
	v_pk_add_f16 v17, v28, v17
	v_pk_add_f16 v15, v30, v20
	v_pk_fma_f16 v16, 0xbb7b, v36, v35 op_sel:[0,0,1] op_sel_hi:[0,1,0] neg_lo:[0,1,0] neg_hi:[0,1,0]
	v_pk_add_f16 v14, v18, v14
	v_pk_fma_f16 v18, 0x3bf1, v37, v21 op_sel:[0,0,1] op_sel_hi:[0,1,0]
	v_pk_add_f16 v7, v13, v7
	v_bfi_b32 v13, 0xffff, v68, v62
	v_pk_add_f16 v16, v16, v17
	v_pk_add_f16 v15, v32, v15
	v_alignbit_b32 v17, s0, v18, 16
	v_pk_fma_f16 v20, 0x3bf1, v37, v21 op_sel:[0,0,1] op_sel_hi:[0,1,0] neg_lo:[0,1,0] neg_hi:[0,1,0]
	v_fma_f16 v57, v39, 0x388b, -v59
	v_fmac_f16_e32 v22, 0xbb7b, v37
	v_fmac_f16_e32 v63, 0x3770, v37
	v_pk_add_f16 v7, v13, v7
	v_bfi_b32 v13, 0xffff, v69, v55
	v_add_f16_e32 v40, v61, v40
	v_add_f16_e32 v46, v52, v46
	v_pk_add_f16 v14, v17, v14
	v_pk_add_f16 v16, v20, v16
	;; [unrolled: 1-line block ×3, first 2 shown]
	v_add_f16_e32 v42, v57, v42
	v_add_f16_e32 v22, v22, v54
	;; [unrolled: 1-line block ×3, first 2 shown]
	v_pk_add_f16 v7, v13, v7
	v_bfi_b32 v13, 0xffff, v53, v50
	v_pack_b32_f16 v40, v40, v49
	v_pack_b32_f16 v17, v46, v43
	;; [unrolled: 1-line block ×3, first 2 shown]
	v_alignbit_b32 v15, v15, v16, 16
	v_pack_b32_f16 v14, v14, v16
	v_pack_b32_f16 v16, v42, v19
	;; [unrolled: 1-line block ×5, first 2 shown]
	v_pk_add_f16 v7, v13, v7
	ds_write2_b32 v29, v45, v40 offset0:2 offset1:3
	ds_write2_b32 v29, v18, v17 offset0:4 offset1:5
	ds_write2_b32 v29, v14, v15 offset0:6 offset1:7
	ds_write2_b32 v29, v19, v16 offset0:8 offset1:9
	ds_write2_b32 v29, v21, v20 offset0:10 offset1:11
	ds_write_b32 v29, v7 offset:48
	s_waitcnt lgkmcnt(0)
	s_barrier
	buffer_gl0_inv
	ds_read2_b32 v[13:14], v4 offset0:78 offset1:169
	ds_read2_b32 v[15:16], v8 offset0:119 offset1:210
	;; [unrolled: 1-line block ×5, first 2 shown]
	ds_read_b32 v31, v23
	ds_read_b32 v33, v4 offset:3692
	v_cmp_gt_u32_e64 s0, 13, v3
	v_lshrrev_b32_e32 v25, 16, v7
                                        ; implicit-def: $vgpr26
                                        ; implicit-def: $vgpr10
                                        ; implicit-def: $vgpr29
                                        ; implicit-def: $vgpr28
                                        ; implicit-def: $vgpr12
                                        ; implicit-def: $vgpr30
                                        ; implicit-def: $vgpr27
	s_and_saveexec_b32 s1, s0
	s_cbranch_execz .LBB0_23
; %bb.22:
	v_add_nc_u32_e32 v11, 0x700, v4
	ds_read2_b32 v[7:8], v8 offset0:28 offset1:197
	ds_read2_b32 v[9:10], v9 offset0:64 offset1:233
	;; [unrolled: 1-line block ×3, first 2 shown]
	s_waitcnt lgkmcnt(2)
	v_lshrrev_b32_e32 v25, 16, v7
	v_lshrrev_b32_e32 v27, 16, v8
	s_waitcnt lgkmcnt(1)
	v_lshrrev_b32_e32 v29, 16, v9
	s_waitcnt lgkmcnt(0)
	v_lshrrev_b32_e32 v30, 16, v11
	v_lshrrev_b32_e32 v28, 16, v12
	;; [unrolled: 1-line block ×3, first 2 shown]
.LBB0_23:
	s_or_b32 exec_lo, exec_lo, s1
	v_and_b32_e32 v32, 0xff, v3
	v_add_nc_u16 v39, v3, 0x4e
	s_waitcnt lgkmcnt(6)
	v_lshrrev_b32_e32 v52, 16, v14
	s_waitcnt lgkmcnt(5)
	v_lshrrev_b32_e32 v53, 16, v16
	;; [unrolled: 2-line block ×3, first 2 shown]
	v_mul_lo_u16 v32, 0x4f, v32
	v_and_b32_e32 v36, 0xff, v39
	s_waitcnt lgkmcnt(3)
	v_lshrrev_b32_e32 v56, 16, v20
	s_waitcnt lgkmcnt(2)
	v_lshrrev_b32_e32 v57, 16, v22
	v_lshrrev_b32_e32 v50, 16, v21
	v_lshrrev_b16 v34, 10, v32
	v_mov_b32_e32 v32, 5
	s_waitcnt lgkmcnt(0)
	v_lshrrev_b32_e32 v51, 16, v33
	v_lshrrev_b32_e32 v58, 16, v15
	v_lshrrev_b32_e32 v59, 16, v17
	v_mul_lo_u16 v35, v34, 13
	v_and_b32_e32 v55, 0xffff, v34
	v_mov_b32_e32 v34, 2
	v_lshrrev_b32_e32 v60, 16, v19
	v_lshrrev_b32_e32 v48, 16, v31
	v_sub_nc_u16 v43, v3, v35
	v_mul_lo_u16 v35, 0x4f, v36
	v_mad_u32_u24 v55, 0x138, v55, 0
	v_lshrrev_b32_e32 v49, 16, v13
	v_mul_u32_u24_sdwa v36, v43, v32 dst_sel:DWORD dst_unused:UNUSED_PAD src0_sel:BYTE_0 src1_sel:DWORD
	v_lshrrev_b16 v44, 10, v35
	v_lshlrev_b32_sdwa v43, v34, v43 dst_sel:DWORD dst_unused:UNUSED_PAD src0_sel:DWORD src1_sel:BYTE_0
	v_lshlrev_b32_e32 v40, 2, v36
	v_mul_lo_u16 v41, v44, 13
	v_and_b32_e32 v44, 0xffff, v44
	v_add3_u32 v43, v55, v43, v24
	s_clause 0x1
	global_load_dwordx4 v[35:38], v40, s[12:13]
	global_load_dword v46, v40, s[12:13] offset:16
	v_sub_nc_u16 v45, v39, v41
	v_mad_u32_u24 v44, 0x138, v44, 0
	v_mul_u32_u24_sdwa v39, v45, v32 dst_sel:DWORD dst_unused:UNUSED_PAD src0_sel:BYTE_0 src1_sel:DWORD
	v_lshlrev_b32_sdwa v45, v34, v45 dst_sel:DWORD dst_unused:UNUSED_PAD src0_sel:DWORD src1_sel:BYTE_0
	v_lshlrev_b32_e32 v47, 2, v39
	v_add3_u32 v44, v44, v45, v24
	s_clause 0x1
	global_load_dwordx4 v[39:42], v47, s[12:13]
	global_load_dword v47, v47, s[12:13] offset:16
	s_waitcnt vmcnt(0)
	s_barrier
	buffer_gl0_inv
	v_mul_f16_sdwa v45, v35, v52 dst_sel:DWORD dst_unused:UNUSED_PAD src0_sel:WORD_1 src1_sel:DWORD
	v_mul_f16_sdwa v55, v35, v14 dst_sel:DWORD dst_unused:UNUSED_PAD src0_sel:WORD_1 src1_sel:DWORD
	;; [unrolled: 1-line block ×10, first 2 shown]
	v_fmac_f16_e32 v45, v35, v14
	v_fma_f16 v14, v35, v52, -v55
	v_fmac_f16_e32 v61, v36, v16
	v_fma_f16 v16, v36, v53, -v62
	;; [unrolled: 2-line block ×5, first 2 shown]
	v_mul_f16_sdwa v35, v39, v58 dst_sel:DWORD dst_unused:UNUSED_PAD src0_sel:WORD_1 src1_sel:DWORD
	v_mul_f16_sdwa v36, v39, v15 dst_sel:DWORD dst_unused:UNUSED_PAD src0_sel:WORD_1 src1_sel:DWORD
	;; [unrolled: 1-line block ×6, first 2 shown]
	v_mul_f16_sdwa v53, v50, v42 dst_sel:DWORD dst_unused:UNUSED_PAD src0_sel:DWORD src1_sel:WORD_1
	v_mul_f16_sdwa v54, v21, v42 dst_sel:DWORD dst_unused:UNUSED_PAD src0_sel:DWORD src1_sel:WORD_1
	;; [unrolled: 1-line block ×4, first 2 shown]
	v_fmac_f16_e32 v35, v39, v15
	v_fma_f16 v15, v39, v58, -v36
	v_fmac_f16_e32 v37, v40, v17
	v_fma_f16 v17, v40, v59, -v38
	;; [unrolled: 2-line block ×5, first 2 shown]
	v_add_f16_e32 v38, v61, v65
	v_sub_f16_e32 v39, v16, v20
	v_add_f16_e32 v40, v48, v16
	v_add_f16_e32 v16, v16, v20
	;; [unrolled: 1-line block ×3, first 2 shown]
	v_sub_f16_e32 v50, v18, v22
	v_add_f16_e32 v51, v14, v18
	v_add_f16_e32 v18, v18, v22
	;; [unrolled: 1-line block ×3, first 2 shown]
	v_sub_f16_e32 v41, v61, v65
	v_add_f16_e32 v42, v45, v63
	v_sub_f16_e32 v52, v63, v67
	v_fmac_f16_e32 v31, -0.5, v38
	v_fmac_f16_e32 v48, -0.5, v16
	;; [unrolled: 1-line block ×4, first 2 shown]
	v_sub_f16_e32 v54, v19, v33
	v_add_f16_e32 v56, v15, v19
	v_add_f16_e32 v19, v19, v33
	;; [unrolled: 1-line block ×8, first 2 shown]
	v_sub_f16_e32 v40, v17, v21
	v_add_f16_e32 v42, v49, v17
	v_add_f16_e32 v17, v17, v21
	;; [unrolled: 1-line block ×4, first 2 shown]
	v_sub_f16_e32 v46, v46, v55
	v_fmamk_f16 v57, v39, 0xbaee, v31
	v_fmac_f16_e32 v31, 0x3aee, v39
	v_fmamk_f16 v39, v41, 0x3aee, v48
	v_fmac_f16_e32 v48, 0xbaee, v41
	;; [unrolled: 2-line block ×3, first 2 shown]
	v_fmamk_f16 v50, v52, 0x3aee, v14
	v_fmac_f16_e32 v15, -0.5, v19
	v_fmac_f16_e32 v14, 0xbaee, v52
	v_sub_f16_e32 v37, v37, v53
	v_add_f16_e32 v52, v36, v16
	v_add_f16_e32 v58, v20, v22
	v_sub_f16_e32 v16, v36, v16
	v_sub_f16_e32 v20, v20, v22
	v_add_f16_e32 v18, v18, v53
	v_fmac_f16_e32 v13, -0.5, v38
	v_add_f16_e32 v21, v42, v21
	v_fmac_f16_e32 v49, -0.5, v17
	;; [unrolled: 2-line block ×3, first 2 shown]
	v_add_f16_e32 v22, v56, v33
	v_mul_f16_e32 v19, 0xbaee, v50
	v_mul_f16_e32 v36, 0.5, v50
	v_fmamk_f16 v42, v46, 0x3aee, v15
	v_fmac_f16_e32 v15, 0xbaee, v46
	v_mul_f16_e32 v33, 0xbaee, v14
	v_mul_f16_e32 v14, -0.5, v14
	v_fmamk_f16 v38, v40, 0xbaee, v13
	v_fmac_f16_e32 v13, 0x3aee, v40
	v_fmamk_f16 v40, v37, 0x3aee, v49
	v_fmac_f16_e32 v49, 0xbaee, v37
	v_fmamk_f16 v37, v54, 0xbaee, v35
	v_add_f16_e32 v46, v18, v17
	v_add_f16_e32 v47, v21, v22
	v_sub_f16_e32 v17, v18, v17
	v_sub_f16_e32 v18, v21, v22
	v_pack_b32_f16 v16, v16, v20
	v_fmac_f16_e32 v19, 0.5, v41
	v_fmac_f16_e32 v36, 0x3aee, v41
	v_mul_f16_e32 v20, 0xbaee, v42
	v_mul_f16_e32 v41, 0.5, v42
	v_fmac_f16_e32 v35, 0x3aee, v54
	v_mul_f16_e32 v22, 0xbaee, v15
	v_mul_f16_e32 v15, -0.5, v15
	v_fmac_f16_e32 v33, -0.5, v45
	v_fmac_f16_e32 v14, 0x3aee, v45
	v_pack_b32_f16 v42, v46, v47
	v_pack_b32_f16 v17, v17, v18
	v_add_f16_e32 v18, v57, v19
	v_add_f16_e32 v46, v39, v36
	v_fmac_f16_e32 v20, 0.5, v37
	v_fmac_f16_e32 v41, 0x3aee, v37
	v_fmac_f16_e32 v22, -0.5, v35
	v_fmac_f16_e32 v15, 0x3aee, v35
	v_add_f16_e32 v45, v31, v33
	v_add_f16_e32 v47, v48, v14
	v_sub_f16_e32 v19, v57, v19
	v_sub_f16_e32 v31, v31, v33
	;; [unrolled: 1-line block ×4, first 2 shown]
	v_pack_b32_f16 v21, v52, v58
	v_add_f16_e32 v35, v38, v20
	v_add_f16_e32 v37, v40, v41
	v_pack_b32_f16 v18, v18, v46
	v_add_f16_e32 v36, v13, v22
	v_add_f16_e32 v39, v49, v15
	v_sub_f16_e32 v20, v38, v20
	v_sub_f16_e32 v13, v13, v22
	;; [unrolled: 1-line block ×4, first 2 shown]
	v_pack_b32_f16 v38, v45, v47
	v_pack_b32_f16 v19, v19, v33
	;; [unrolled: 1-line block ×3, first 2 shown]
	ds_write2_b32 v43, v21, v18 offset1:13
	v_pack_b32_f16 v18, v35, v37
	v_pack_b32_f16 v21, v36, v39
	;; [unrolled: 1-line block ×4, first 2 shown]
	ds_write2_b32 v43, v38, v16 offset0:26 offset1:39
	ds_write2_b32 v43, v19, v14 offset0:52 offset1:65
	ds_write2_b32 v44, v42, v18 offset1:13
	ds_write2_b32 v44, v21, v17 offset0:26 offset1:39
	ds_write2_b32 v44, v20, v13 offset0:52 offset1:65
	s_and_saveexec_b32 s1, s0
	s_cbranch_execz .LBB0_25
; %bb.24:
	v_add_nc_u16 v13, v3, 0x9c
	v_and_b32_e32 v14, 0xff, v13
	v_mul_lo_u16 v14, 0x4f, v14
	v_lshrrev_b16 v14, 10, v14
	v_mul_lo_u16 v14, v14, 13
	v_sub_nc_u16 v17, v13, v14
	v_mul_u32_u24_sdwa v13, v17, v32 dst_sel:DWORD dst_unused:UNUSED_PAD src0_sel:BYTE_0 src1_sel:DWORD
	v_lshlrev_b32_sdwa v17, v34, v17 dst_sel:DWORD dst_unused:UNUSED_PAD src0_sel:DWORD src1_sel:BYTE_0
	v_lshlrev_b32_e32 v18, 2, v13
	v_add3_u32 v17, 0, v17, v24
	s_clause 0x1
	global_load_dwordx4 v[13:16], v18, s[12:13]
	global_load_dword v18, v18, s[12:13] offset:16
	v_add_nc_u32_e32 v17, 0xc00, v17
	s_waitcnt vmcnt(1)
	v_mul_f16_sdwa v22, v29, v16 dst_sel:DWORD dst_unused:UNUSED_PAD src0_sel:DWORD src1_sel:WORD_1
	v_mul_f16_sdwa v24, v27, v13 dst_sel:DWORD dst_unused:UNUSED_PAD src0_sel:DWORD src1_sel:WORD_1
	;; [unrolled: 1-line block ×3, first 2 shown]
	s_waitcnt vmcnt(0)
	v_mul_f16_sdwa v34, v10, v18 dst_sel:DWORD dst_unused:UNUSED_PAD src0_sel:DWORD src1_sel:WORD_1
	v_mul_f16_sdwa v20, v9, v16 dst_sel:DWORD dst_unused:UNUSED_PAD src0_sel:DWORD src1_sel:WORD_1
	;; [unrolled: 1-line block ×6, first 2 shown]
	v_fmac_f16_e32 v22, v9, v16
	v_fmac_f16_e32 v24, v8, v13
	v_fma_f16 v8, v28, v15, -v33
	v_fma_f16 v9, v26, v18, -v34
	v_mul_f16_sdwa v19, v11, v14 dst_sel:DWORD dst_unused:UNUSED_PAD src0_sel:DWORD src1_sel:WORD_1
	v_fmac_f16_e32 v21, v11, v14
	v_fmac_f16_e32 v31, v12, v15
	;; [unrolled: 1-line block ×3, first 2 shown]
	v_fma_f16 v10, v27, v13, -v35
	v_add_f16_e32 v15, v8, v9
	v_fma_f16 v19, v30, v14, -v19
	v_fma_f16 v20, v29, v16, -v20
	v_sub_f16_e32 v12, v21, v22
	v_add_f16_e32 v13, v31, v32
	v_sub_f16_e32 v14, v8, v9
	v_sub_f16_e32 v16, v31, v32
	v_add_f16_e32 v8, v10, v8
	v_add_f16_e32 v26, v21, v22
	;; [unrolled: 1-line block ×3, first 2 shown]
	v_fma_f16 v10, -0.5, v15, v10
	v_add_f16_e32 v11, v19, v20
	v_add_f16_e32 v18, v25, v19
	;; [unrolled: 1-line block ×3, first 2 shown]
	v_sub_f16_e32 v19, v19, v20
	v_fma_f16 v13, -0.5, v13, v24
	v_add_f16_e32 v8, v8, v9
	v_fma_f16 v7, -0.5, v26, v7
	v_add_f16_e32 v9, v21, v22
	v_fmamk_f16 v22, v16, 0xbaee, v10
	v_fmac_f16_e32 v10, 0x3aee, v16
	v_fma_f16 v11, -0.5, v11, v25
	v_add_f16_e32 v15, v18, v20
	v_add_f16_e32 v18, v27, v32
	v_fmamk_f16 v21, v14, 0x3aee, v13
	v_fmac_f16_e32 v13, 0xbaee, v14
	v_fmamk_f16 v14, v19, 0x3aee, v7
	v_fmac_f16_e32 v7, 0xbaee, v19
	v_mul_f16_e32 v19, 0.5, v10
	v_mul_f16_e32 v10, 0xbaee, v10
	v_fmamk_f16 v20, v12, 0xbaee, v11
	v_fmac_f16_e32 v11, 0x3aee, v12
	v_sub_f16_e32 v12, v15, v8
	v_sub_f16_e32 v16, v9, v18
	v_add_f16_e32 v8, v15, v8
	v_mul_f16_e32 v15, -0.5, v22
	v_add_f16_e32 v9, v9, v18
	v_mul_f16_e32 v18, 0xbaee, v22
	v_fmac_f16_e32 v19, 0x3aee, v13
	v_fmac_f16_e32 v10, 0.5, v13
	v_fmac_f16_e32 v15, 0x3aee, v21
	v_pack_b32_f16 v8, v9, v8
	v_fmac_f16_e32 v18, -0.5, v21
	v_sub_f16_e32 v13, v11, v19
	v_add_f16_e32 v11, v11, v19
	v_add_f16_e32 v19, v7, v10
	v_sub_f16_e32 v9, v20, v15
	v_add_f16_e32 v15, v20, v15
	v_add_f16_e32 v20, v14, v18
	v_sub_f16_e32 v7, v7, v10
	v_sub_f16_e32 v10, v14, v18
	v_pack_b32_f16 v11, v19, v11
	v_pack_b32_f16 v12, v16, v12
	v_pack_b32_f16 v14, v20, v15
	v_pack_b32_f16 v7, v7, v13
	v_pack_b32_f16 v9, v10, v9
	ds_write2_b32 v17, v8, v11 offset0:168 offset1:181
	ds_write2_b32 v17, v14, v12 offset0:194 offset1:207
	;; [unrolled: 1-line block ×3, first 2 shown]
.LBB0_25:
	s_or_b32 exec_lo, exec_lo, s1
	v_mul_u32_u24_e32 v7, 12, v3
	s_waitcnt lgkmcnt(0)
	s_barrier
	buffer_gl0_inv
	v_add_nc_u32_e32 v8, 0x400, v4
	v_lshlrev_b32_e32 v7, 2, v7
	v_add_nc_u32_e32 v10, 0xa00, v4
	v_add_nc_u32_e32 v9, 0xc00, v4
	v_add_nc_u32_e32 v11, 0x200, v4
	s_clause 0x2
	global_load_dwordx4 v[19:22], v7, s[12:13] offset:260
	global_load_dwordx4 v[35:38], v7, s[12:13] offset:276
	;; [unrolled: 1-line block ×3, first 2 shown]
	v_add_nc_u32_e32 v7, 0x800, v4
	ds_read2_b32 v[12:13], v4 offset0:78 offset1:156
	ds_read2_b32 v[32:33], v8 offset0:134 offset1:212
	;; [unrolled: 1-line block ×6, first 2 shown]
	ds_read_b32 v26, v23
	s_waitcnt vmcnt(0) lgkmcnt(0)
	s_barrier
	buffer_gl0_inv
	v_lshrrev_b32_e32 v23, 16, v12
	v_lshrrev_b32_e32 v25, 16, v13
	;; [unrolled: 1-line block ×12, first 2 shown]
	v_mul_f16_sdwa v60, v19, v23 dst_sel:DWORD dst_unused:UNUSED_PAD src0_sel:WORD_1 src1_sel:DWORD
	v_mul_f16_sdwa v30, v19, v12 dst_sel:DWORD dst_unused:UNUSED_PAD src0_sel:WORD_1 src1_sel:DWORD
	;; [unrolled: 1-line block ×4, first 2 shown]
	v_mul_f16_sdwa v10, v52, v36 dst_sel:DWORD dst_unused:UNUSED_PAD src0_sel:DWORD src1_sel:WORD_1
	v_mul_f16_sdwa v64, v33, v36 dst_sel:DWORD dst_unused:UNUSED_PAD src0_sel:DWORD src1_sel:WORD_1
	;; [unrolled: 1-line block ×7, first 2 shown]
	v_fmac_f16_e32 v60, v19, v12
	v_fma_f16 v71, v19, v23, -v30
	v_mul_f16_sdwa v29, v21, v28 dst_sel:DWORD dst_unused:UNUSED_PAD src0_sel:WORD_1 src1_sel:DWORD
	v_mul_f16_sdwa v61, v21, v49 dst_sel:DWORD dst_unused:UNUSED_PAD src0_sel:WORD_1 src1_sel:DWORD
	;; [unrolled: 1-line block ×4, first 2 shown]
	v_mul_f16_sdwa v24, v51, v35 dst_sel:DWORD dst_unused:UNUSED_PAD src0_sel:DWORD src1_sel:WORD_1
	v_mul_f16_sdwa v63, v32, v35 dst_sel:DWORD dst_unused:UNUSED_PAD src0_sel:DWORD src1_sel:WORD_1
	;; [unrolled: 1-line block ×9, first 2 shown]
	v_fmac_f16_e32 v31, v20, v13
	v_fma_f16 v34, v20, v25, -v34
	v_fmac_f16_e32 v10, v33, v36
	v_fma_f16 v12, v52, v36, -v64
	;; [unrolled: 2-line block ×4, first 2 shown]
	v_fma_f16 v20, v57, v41, -v69
	v_add_f16_e32 v36, v60, v26
	v_add_f16_sdwa v37, v71, v26 dst_sel:DWORD dst_unused:UNUSED_PAD src0_sel:DWORD src1_sel:WORD_1
	v_fmac_f16_e32 v29, v21, v49
	v_fma_f16 v30, v21, v28, -v61
	v_fmac_f16_e32 v27, v22, v50
	v_fma_f16 v28, v22, v59, -v62
	;; [unrolled: 2-line block ×6, first 2 shown]
	v_fmac_f16_e32 v17, v48, v42
	v_add_f16_e32 v39, v71, v19
	v_sub_f16_e32 v40, v71, v19
	v_add_f16_e32 v38, v31, v16
	v_add_f16_e32 v41, v34, v20
	v_sub_f16_e32 v35, v31, v16
	v_sub_f16_e32 v42, v34, v20
	v_add_f16_e32 v31, v36, v31
	v_add_f16_e32 v34, v37, v34
	;; [unrolled: 1-line block ×3, first 2 shown]
	v_sub_f16_e32 v33, v60, v17
	v_sub_f16_e32 v43, v30, v21
	v_add_f16_e32 v44, v29, v15
	v_add_f16_e32 v45, v30, v21
	v_sub_f16_e32 v46, v29, v15
	v_sub_f16_e32 v47, v28, v22
	v_add_f16_e32 v49, v28, v22
	v_mul_f16_e32 v36, 0xb770, v40
	v_mul_f16_e32 v37, 0x3b15, v39
	;; [unrolled: 1-line block ×12, first 2 shown]
	v_add_f16_e32 v30, v34, v30
	v_add_f16_e32 v29, v31, v29
	;; [unrolled: 1-line block ×3, first 2 shown]
	v_sub_f16_e32 v50, v27, v14
	v_mul_f16_e32 v59, 0xba95, v42
	v_mul_f16_e32 v60, 0x388b, v41
	v_mul_f16_e32 v61, 0xbb7b, v42
	v_mul_f16_e32 v62, 0xb5ac, v41
	v_mul_f16_e32 v63, 0xb3a8, v42
	v_mul_f16_e32 v64, 0xbbc4, v41
	v_mul_f16_e32 v65, 0x394e, v42
	v_mul_f16_e32 v66, 0xb9fd, v41
	v_mul_f16_e32 v67, 0x3bf1, v42
	v_mul_f16_e32 v68, 0x2fb7, v41
	v_mul_f16_e32 v42, 0x3770, v42
	v_mul_f16_e32 v41, 0x3b15, v41
	v_mul_f16_e32 v69, 0xbbf1, v43
	v_mul_f16_e32 v70, 0xb3a8, v43
	v_mul_f16_e32 v71, 0x3b7b, v43
	v_mul_f16_e32 v72, 0x3770, v43
	v_mul_f16_e32 v73, 0xba95, v43
	v_mul_f16_e32 v43, 0xb94e, v43
	v_mul_f16_e32 v74, 0x2fb7, v45
	v_mul_f16_e32 v75, 0xbbc4, v45
	v_mul_f16_e32 v76, 0xb5ac, v45
	v_mul_f16_e32 v77, 0x3b15, v45
	v_mul_f16_e32 v78, 0x388b, v45
	v_mul_f16_e32 v45, 0xb9fd, v45
	v_mul_f16_e32 v79, 0xbb7b, v47
	v_mul_f16_e32 v80, 0x394e, v47
	v_mul_f16_e32 v81, 0x3770, v47
	v_mul_f16_e32 v82, 0xbbf1, v47
	v_mul_f16_e32 v83, 0x33a8, v47
	v_mul_f16_e32 v47, 0x3a95, v47
	v_mul_f16_e32 v84, 0xb5ac, v49
	v_mul_f16_e32 v85, 0xb9fd, v49
	v_mul_f16_e32 v86, 0x3b15, v49
	v_mul_f16_e32 v87, 0x2fb7, v49
	v_mul_f16_e32 v88, 0xbbc4, v49
	v_mul_f16_e32 v49, 0x388b, v49
	v_fmamk_f16 v89, v32, 0x3b15, v36
	v_fmamk_f16 v90, v33, 0x3770, v37
	v_fma_f16 v36, v32, 0x3b15, -v36
	v_fmac_f16_e32 v37, 0xb770, v33
	v_fmamk_f16 v91, v32, 0x388b, v51
	v_fmamk_f16 v92, v33, 0x3a95, v52
	v_fma_f16 v51, v32, 0x388b, -v51
	v_fmac_f16_e32 v52, 0xba95, v33
	;; [unrolled: 4-line block ×6, first 2 shown]
	v_add_f16_e32 v27, v29, v27
	v_add_f16_e32 v28, v30, v28
	v_fmamk_f16 v33, v38, 0x388b, v59
	v_fmamk_f16 v40, v35, 0x3a95, v60
	v_fma_f16 v59, v38, 0x388b, -v59
	v_fmac_f16_e32 v60, 0xba95, v35
	v_fmamk_f16 v101, v38, 0xb5ac, v61
	v_fmamk_f16 v102, v35, 0x3b7b, v62
	v_fma_f16 v61, v38, 0xb5ac, -v61
	v_fmac_f16_e32 v62, 0xbb7b, v35
	v_fmamk_f16 v103, v38, 0xbbc4, v63
	v_fmamk_f16 v104, v35, 0x33a8, v64
	v_fma_f16 v63, v38, 0xbbc4, -v63
	v_fmac_f16_e32 v64, 0xb3a8, v35
	v_fmamk_f16 v105, v38, 0xb9fd, v65
	v_fma_f16 v65, v38, 0xb9fd, -v65
	v_fmamk_f16 v106, v38, 0x2fb7, v67
	v_fma_f16 v67, v38, 0x2fb7, -v67
	;; [unrolled: 2-line block ×3, first 2 shown]
	v_fmamk_f16 v42, v35, 0xb94e, v66
	v_fmac_f16_e32 v66, 0x394e, v35
	v_fmamk_f16 v108, v35, 0xbbf1, v68
	v_fmac_f16_e32 v68, 0x3bf1, v35
	;; [unrolled: 2-line block ×3, first 2 shown]
	v_fmamk_f16 v35, v44, 0x2fb7, v69
	v_fma_f16 v69, v44, 0x2fb7, -v69
	v_fmamk_f16 v110, v44, 0xbbc4, v70
	v_fma_f16 v70, v44, 0xbbc4, -v70
	;; [unrolled: 2-line block ×6, first 2 shown]
	v_fmamk_f16 v31, v46, 0x3bf1, v74
	v_fmac_f16_e32 v74, 0xbbf1, v46
	v_fmamk_f16 v34, v46, 0x33a8, v75
	v_fmac_f16_e32 v75, 0xb3a8, v46
	v_fmamk_f16 v44, v46, 0xbb7b, v76
	v_fmac_f16_e32 v76, 0x3b7b, v46
	v_fmamk_f16 v115, v46, 0xb770, v77
	v_fmac_f16_e32 v77, 0x3770, v46
	v_fmamk_f16 v116, v46, 0x3a95, v78
	v_fmac_f16_e32 v78, 0xba95, v46
	v_fmamk_f16 v117, v46, 0x394e, v45
	v_fmac_f16_e32 v45, 0xb94e, v46
	v_fmamk_f16 v46, v48, 0xb5ac, v79
	v_fma_f16 v79, v48, 0xb5ac, -v79
	v_fmamk_f16 v118, v48, 0xb9fd, v80
	v_fma_f16 v80, v48, 0xb9fd, -v80
	;; [unrolled: 2-line block ×6, first 2 shown]
	v_fmamk_f16 v48, v50, 0x3b7b, v84
	v_fmac_f16_e32 v84, 0xbb7b, v50
	v_fmamk_f16 v123, v50, 0xb94e, v85
	v_fmac_f16_e32 v85, 0x394e, v50
	;; [unrolled: 2-line block ×6, first 2 shown]
	v_add_f16_e32 v50, v24, v18
	v_sub_f16_e32 v29, v25, v23
	v_add_f16_e32 v30, v25, v23
	v_add_f16_e32 v89, v89, v26
	v_add_f16_sdwa v90, v90, v26 dst_sel:DWORD dst_unused:UNUSED_PAD src0_sel:DWORD src1_sel:WORD_1
	v_add_f16_e32 v36, v36, v26
	v_add_f16_sdwa v37, v37, v26 dst_sel:DWORD dst_unused:UNUSED_PAD src0_sel:DWORD src1_sel:WORD_1
	;; [unrolled: 2-line block ×12, first 2 shown]
	v_sub_f16_e32 v39, v24, v18
	v_add_f16_e32 v25, v28, v25
	v_add_f16_e32 v24, v27, v24
	;; [unrolled: 1-line block ×7, first 2 shown]
	v_mul_f16_e32 v90, 0xb9fd, v30
	v_add_f16_e32 v91, v101, v91
	v_add_f16_e32 v42, v42, v96
	v_add_f16_e32 v25, v25, v13
	v_add_f16_e32 v24, v24, v11
	v_add_f16_e32 v27, v35, v33
	v_add_f16_e32 v33, v74, v37
	v_mul_f16_e32 v89, 0xb94e, v29
	v_add_f16_e32 v23, v25, v23
	v_add_f16_e32 v18, v24, v18
	;; [unrolled: 1-line block ×3, first 2 shown]
	v_mul_f16_e32 v59, 0x3bf1, v29
	v_add_f16_e32 v92, v102, v92
	v_add_f16_e32 v51, v61, v51
	;; [unrolled: 1-line block ×3, first 2 shown]
	v_mul_f16_e32 v62, 0xbbc4, v30
	v_add_f16_e32 v94, v104, v94
	v_fmamk_f16 v104, v39, 0x394e, v90
	v_fmac_f16_e32 v90, 0xb94e, v39
	v_add_f16_e32 v54, v64, v54
	v_add_f16_e32 v95, v105, v95
	;; [unrolled: 1-line block ×8, first 2 shown]
	v_mul_f16_e32 v60, 0x2fb7, v30
	v_mul_f16_e32 v61, 0x33a8, v29
	v_add_f16_e32 v93, v103, v93
	v_fmamk_f16 v103, v50, 0xb9fd, v89
	v_add_f16_e32 v53, v63, v53
	v_fmamk_f16 v63, v50, 0x2fb7, v59
	v_add_f16_e32 v32, v38, v32
	v_add_f16_e32 v26, v41, v26
	;; [unrolled: 1-line block ×17, first 2 shown]
	v_fmamk_f16 v33, v39, 0xb3a8, v62
	v_mul_f16_e32 v101, 0xba95, v29
	v_mul_f16_e32 v102, 0x388b, v30
	v_fmamk_f16 v64, v39, 0xbbf1, v60
	v_fma_f16 v59, v50, 0x2fb7, -v59
	v_fmamk_f16 v65, v50, 0xbbc4, v61
	v_add_f16_e32 v56, v66, v56
	v_add_f16_e32 v66, v106, v97
	v_add_f16_e32 v97, v108, v98
	v_add_f16_e32 v58, v68, v58
	v_add_f16_e32 v68, v109, v100
	v_add_f16_e32 v41, v71, v53
	v_add_f16_e32 v32, v43, v32
	v_add_f16_e32 v26, v45, v26
	v_add_f16_e32 v34, v123, v34
	v_add_f16_e32 v36, v80, v36
	v_add_f16_e32 v43, v86, v44
	v_add_f16_e32 v44, v120, v51
	v_add_f16_e32 v45, v82, v52
	v_add_f16_e32 v25, v103, v27
	v_add_f16_e32 v27, v63, v35
	v_add_f16_e32 v15, v15, v20
	v_fma_f16 v35, v50, 0xbbc4, -v61
	v_add_f16_e32 v33, v33, v42
	v_sub_f16_e32 v42, v12, v13
	v_fma_f16 v89, v50, 0xb9fd, -v89
	v_fmamk_f16 v105, v50, 0x388b, v101
	v_fmamk_f16 v96, v39, 0x3a95, v102
	v_fma_f16 v101, v50, 0x388b, -v101
	v_fmac_f16_e32 v102, 0xba95, v39
	v_add_f16_e32 v38, v111, v93
	v_add_f16_e32 v54, v113, v66
	;; [unrolled: 1-line block ×11, first 2 shown]
	v_mul_f16_e32 v34, 0x3770, v29
	v_mul_f16_e32 v36, 0x3b15, v30
	v_add_f16_e32 v35, v35, v45
	v_mul_f16_e32 v29, 0xbb7b, v29
	v_mul_f16_e32 v30, 0xb5ac, v30
	v_add_f16_e32 v44, v10, v11
	v_mul_f16_e32 v45, 0xb3a8, v42
	v_add_f16_e32 v12, v12, v13
	v_add_f16_e32 v28, v48, v28
	;; [unrolled: 1-line block ×11, first 2 shown]
	v_fmamk_f16 v41, v50, 0xb5ac, v29
	v_fmamk_f16 v43, v39, 0x3b7b, v30
	v_fma_f16 v13, v50, 0xb5ac, -v29
	v_fmac_f16_e32 v30, 0xbb7b, v39
	v_sub_f16_e32 v10, v10, v11
	v_fmamk_f16 v11, v44, 0xbbc4, v45
	v_mul_f16_e32 v29, 0xbbc4, v12
	v_fmac_f16_e32 v60, 0x3bf1, v39
	v_add_f16_e32 v26, v104, v28
	v_add_f16_e32 v16, v105, v38
	v_fmac_f16_e32 v62, 0x33a8, v39
	v_fmamk_f16 v38, v39, 0xb770, v36
	v_fmac_f16_e32 v36, 0x3770, v39
	v_add_f16_e32 v39, v43, v55
	v_add_f16_e32 v13, v13, v32
	;; [unrolled: 1-line block ×4, first 2 shown]
	v_fmamk_f16 v25, v10, 0x33a8, v29
	v_mul_f16_e32 v30, 0x3770, v42
	v_fma_f16 v32, v44, 0xbbc4, -v45
	v_fmac_f16_e32 v29, 0xb3a8, v10
	v_mul_f16_e32 v43, 0x3b15, v12
	v_add_f16_e32 v25, v25, v26
	v_fmamk_f16 v26, v44, 0x3b15, v30
	v_add_f16_e32 v22, v32, v22
	v_add_f16_e32 v23, v29, v23
	v_fmamk_f16 v29, v10, 0xb770, v43
	v_mul_f16_e32 v32, 0xb94e, v42
	v_add_f16_e32 v37, v85, v37
	v_add_f16_e32 v40, v124, v40
	;; [unrolled: 1-line block ×3, first 2 shown]
	v_fma_f16 v27, v44, 0x3b15, -v30
	v_add_f16_e32 v18, v29, v18
	v_fmamk_f16 v29, v44, 0xb9fd, v32
	v_mul_f16_e32 v30, 0xb9fd, v12
	v_add_f16_e32 v57, v67, v57
	v_add_f16_e32 v53, v77, v56
	;; [unrolled: 1-line block ×4, first 2 shown]
	v_fmac_f16_e32 v43, 0x3770, v10
	v_add_f16_e32 v16, v29, v16
	v_fmamk_f16 v29, v10, 0x394e, v30
	v_fma_f16 v32, v44, 0xb9fd, -v32
	v_fmac_f16_e32 v30, 0xb94e, v10
	v_mul_f16_e32 v45, 0x388b, v12
	v_add_f16_e32 v67, v107, v99
	v_add_f16_e32 v56, v73, v57
	v_add_f16_e32 v46, v87, v53
	v_add_f16_e32 v48, v121, v54
	v_fmamk_f16 v37, v50, 0x3b15, v34
	v_add_f16_e32 v21, v27, v21
	v_add_f16_e32 v27, v43, v28
	v_mul_f16_e32 v28, 0x3a95, v42
	v_add_f16_e32 v20, v29, v20
	v_add_f16_e32 v29, v32, v31
	;; [unrolled: 1-line block ×3, first 2 shown]
	v_fmamk_f16 v30, v10, 0xba95, v45
	v_mul_f16_e32 v31, 0xbb7b, v42
	v_add_f16_e32 v57, v78, v58
	v_add_f16_e32 v58, v114, v67
	;; [unrolled: 1-line block ×5, first 2 shown]
	v_fma_f16 v34, v50, 0x3b15, -v34
	v_fmamk_f16 v43, v44, 0x388b, v28
	v_fma_f16 v28, v44, 0x388b, -v28
	v_fmac_f16_e32 v45, 0x3a95, v10
	v_mul_f16_e32 v32, 0xb5ac, v12
	v_add_f16_e32 v30, v30, v33
	v_fmamk_f16 v33, v44, 0xb5ac, v31
	v_add_f16_e32 v53, v88, v57
	v_add_f16_e32 v54, v122, v58
	;; [unrolled: 1-line block ×6, first 2 shown]
	v_fmamk_f16 v40, v10, 0x3b7b, v32
	v_fma_f16 v31, v44, 0xb5ac, -v31
	v_add_f16_e32 v33, v33, v37
	v_mul_f16_e32 v37, 0x3bf1, v42
	v_mul_f16_e32 v12, 0x2fb7, v12
	v_add_f16_e32 v36, v36, v53
	v_add_f16_e32 v41, v41, v54
	;; [unrolled: 1-line block ×4, first 2 shown]
	v_fmac_f16_e32 v32, 0xbb7b, v10
	v_fmamk_f16 v34, v44, 0x2fb7, v37
	v_fmamk_f16 v40, v10, 0xbbf1, v12
	v_fma_f16 v37, v44, 0x2fb7, -v37
	v_fmac_f16_e32 v12, 0x3bf1, v10
	v_add_f16_e32 v19, v43, v19
	v_pack_b32_f16 v14, v14, v15
	v_pack_b32_f16 v11, v11, v25
	v_add_f16_e32 v10, v32, v36
	v_add_f16_e32 v32, v34, v41
	;; [unrolled: 1-line block ×5, first 2 shown]
	v_pack_b32_f16 v15, v26, v18
	v_pack_b32_f16 v16, v16, v20
	ds_write2_b32 v4, v14, v11 offset1:78
	ds_write2_b32 v4, v15, v16 offset0:156 offset1:234
	v_pack_b32_f16 v11, v19, v30
	v_pack_b32_f16 v14, v33, v38
	;; [unrolled: 1-line block ×4, first 2 shown]
	v_add_nc_u32_e32 v13, 0x600, v4
	v_pack_b32_f16 v10, v31, v10
	v_pack_b32_f16 v16, v28, v35
	v_pack_b32_f16 v17, v29, v17
	v_pack_b32_f16 v18, v21, v27
	v_pack_b32_f16 v19, v22, v23
	ds_write2_b32 v8, v11, v14 offset0:56 offset1:134
	ds_write2_b32 v13, v15, v12 offset0:84 offset1:162
	;; [unrolled: 1-line block ×4, first 2 shown]
	ds_write_b32 v4, v19 offset:3744
	s_waitcnt lgkmcnt(0)
	s_barrier
	buffer_gl0_inv
	s_and_saveexec_b32 s0, vcc_lo
	s_cbranch_execz .LBB0_27
; %bb.26:
	v_mul_lo_u32 v7, s3, v5
	v_mul_lo_u32 v8, s2, v6
	v_mad_u64_u32 v[5:6], null, s2, v5, 0
	v_lshl_add_u32 v19, v3, 2, v0
	v_mov_b32_e32 v4, 0
	v_lshlrev_b64 v[0:1], 2, v[1:2]
	v_add_nc_u32_e32 v9, 0x9c, v3
	ds_read2_b32 v[11:12], v19 offset1:78
	v_add3_u32 v6, v6, v8, v7
	v_add_nc_u32_e32 v7, 0x4e, v3
	v_mov_b32_e32 v8, v4
	ds_read2_b32 v[15:16], v19 offset0:156 offset1:234
	v_lshlrev_b64 v[13:14], 2, v[3:4]
	v_lshlrev_b64 v[5:6], 2, v[5:6]
	v_mov_b32_e32 v10, v4
	v_add_co_u32 v2, vcc_lo, s10, v5
	v_add_co_ci_u32_e32 v17, vcc_lo, s11, v6, vcc_lo
	v_lshlrev_b64 v[5:6], 2, v[7:8]
	v_add_co_u32 v20, vcc_lo, v2, v0
	v_add_co_ci_u32_e32 v21, vcc_lo, v17, v1, vcc_lo
	v_add_nc_u32_e32 v2, 0x400, v19
	v_lshlrev_b64 v[0:1], 2, v[9:10]
	v_add_co_u32 v7, vcc_lo, v20, v13
	v_add_co_ci_u32_e32 v8, vcc_lo, v21, v14, vcc_lo
	v_add_co_u32 v5, vcc_lo, v20, v5
	v_add_nc_u32_e32 v9, 0xea, v3
	ds_read2_b32 v[17:18], v2 offset0:56 offset1:134
	v_add_co_ci_u32_e32 v6, vcc_lo, v21, v6, vcc_lo
	v_add_co_u32 v0, vcc_lo, v20, v0
	v_add_nc_u32_e32 v13, 0x138, v3
	v_mov_b32_e32 v14, v4
	v_add_co_ci_u32_e32 v1, vcc_lo, v21, v1, vcc_lo
	v_lshlrev_b64 v[9:10], 2, v[9:10]
	s_waitcnt lgkmcnt(2)
	global_store_dword v[7:8], v11, off
	global_store_dword v[5:6], v12, off
	s_waitcnt lgkmcnt(1)
	global_store_dword v[0:1], v15, off
	v_lshlrev_b64 v[0:1], 2, v[13:14]
	v_add_nc_u32_e32 v2, 0x600, v19
	v_add_nc_u32_e32 v7, 0x186, v3
	v_mov_b32_e32 v8, v4
	v_add_co_u32 v5, vcc_lo, v20, v9
	v_add_co_ci_u32_e32 v6, vcc_lo, v21, v10, vcc_lo
	v_add_co_u32 v0, vcc_lo, v20, v0
	v_add_co_ci_u32_e32 v1, vcc_lo, v21, v1, vcc_lo
	v_add_nc_u32_e32 v9, 0x1d4, v3
	v_mov_b32_e32 v10, v4
	global_store_dword v[5:6], v16, off
	s_waitcnt lgkmcnt(0)
	global_store_dword v[0:1], v17, off
	ds_read2_b32 v[5:6], v2 offset0:84 offset1:162
	v_lshlrev_b64 v[0:1], 2, v[7:8]
	v_add_nc_u32_e32 v2, 0x800, v19
	v_lshlrev_b64 v[7:8], 2, v[9:10]
	v_add_nc_u32_e32 v9, 0x222, v3
	v_add_nc_u32_e32 v11, 0x270, v3
	v_mov_b32_e32 v12, v4
	v_add_co_u32 v0, vcc_lo, v20, v0
	v_lshlrev_b64 v[9:10], 2, v[9:10]
	v_add_co_ci_u32_e32 v1, vcc_lo, v21, v1, vcc_lo
	v_add_co_u32 v7, vcc_lo, v20, v7
	v_add_co_ci_u32_e32 v8, vcc_lo, v21, v8, vcc_lo
	v_add_co_u32 v9, vcc_lo, v20, v9
	v_add_co_ci_u32_e32 v10, vcc_lo, v21, v10, vcc_lo
	global_store_dword v[0:1], v18, off
	s_waitcnt lgkmcnt(0)
	global_store_dword v[7:8], v5, off
	global_store_dword v[9:10], v6, off
	ds_read2_b32 v[0:1], v2 offset0:112 offset1:190
	v_add_nc_u32_e32 v7, 0x2be, v3
	v_mov_b32_e32 v8, v4
	v_add_nc_u32_e32 v2, 0xc00, v19
	v_lshlrev_b64 v[5:6], 2, v[11:12]
	v_add_nc_u32_e32 v9, 0x30c, v3
	v_mov_b32_e32 v10, v4
	v_lshlrev_b64 v[7:8], 2, v[7:8]
	ds_read2_b32 v[11:12], v2 offset0:12 offset1:90
	v_add_nc_u32_e32 v13, 0x35a, v3
	ds_read_b32 v15, v19 offset:3744
	v_add_co_u32 v5, vcc_lo, v20, v5
	v_lshlrev_b64 v[9:10], 2, v[9:10]
	v_add_nc_u32_e32 v3, 0x3a8, v3
	v_add_co_ci_u32_e32 v6, vcc_lo, v21, v6, vcc_lo
	v_add_co_u32 v7, vcc_lo, v20, v7
	v_lshlrev_b64 v[13:14], 2, v[13:14]
	v_add_co_ci_u32_e32 v8, vcc_lo, v21, v8, vcc_lo
	v_add_co_u32 v9, vcc_lo, v20, v9
	v_lshlrev_b64 v[2:3], 2, v[3:4]
	v_add_co_ci_u32_e32 v10, vcc_lo, v21, v10, vcc_lo
	v_add_co_u32 v13, vcc_lo, v20, v13
	v_add_co_ci_u32_e32 v14, vcc_lo, v21, v14, vcc_lo
	v_add_co_u32 v2, vcc_lo, v20, v2
	v_add_co_ci_u32_e32 v3, vcc_lo, v21, v3, vcc_lo
	s_waitcnt lgkmcnt(2)
	global_store_dword v[5:6], v0, off
	global_store_dword v[7:8], v1, off
	s_waitcnt lgkmcnt(1)
	global_store_dword v[9:10], v11, off
	global_store_dword v[13:14], v12, off
	s_waitcnt lgkmcnt(0)
	global_store_dword v[2:3], v15, off
.LBB0_27:
	s_endpgm
	.section	.rodata,"a",@progbits
	.p2align	6, 0x0
	.amdhsa_kernel fft_rtc_back_len1014_factors_13_6_13_wgs_156_tpt_78_half_op_CI_CI_unitstride_sbrr_C2R_dirReg
		.amdhsa_group_segment_fixed_size 0
		.amdhsa_private_segment_fixed_size 0
		.amdhsa_kernarg_size 104
		.amdhsa_user_sgpr_count 6
		.amdhsa_user_sgpr_private_segment_buffer 1
		.amdhsa_user_sgpr_dispatch_ptr 0
		.amdhsa_user_sgpr_queue_ptr 0
		.amdhsa_user_sgpr_kernarg_segment_ptr 1
		.amdhsa_user_sgpr_dispatch_id 0
		.amdhsa_user_sgpr_flat_scratch_init 0
		.amdhsa_user_sgpr_private_segment_size 0
		.amdhsa_wavefront_size32 1
		.amdhsa_uses_dynamic_stack 0
		.amdhsa_system_sgpr_private_segment_wavefront_offset 0
		.amdhsa_system_sgpr_workgroup_id_x 1
		.amdhsa_system_sgpr_workgroup_id_y 0
		.amdhsa_system_sgpr_workgroup_id_z 0
		.amdhsa_system_sgpr_workgroup_info 0
		.amdhsa_system_vgpr_workitem_id 0
		.amdhsa_next_free_vgpr 128
		.amdhsa_next_free_sgpr 27
		.amdhsa_reserve_vcc 1
		.amdhsa_reserve_flat_scratch 0
		.amdhsa_float_round_mode_32 0
		.amdhsa_float_round_mode_16_64 0
		.amdhsa_float_denorm_mode_32 3
		.amdhsa_float_denorm_mode_16_64 3
		.amdhsa_dx10_clamp 1
		.amdhsa_ieee_mode 1
		.amdhsa_fp16_overflow 0
		.amdhsa_workgroup_processor_mode 1
		.amdhsa_memory_ordered 1
		.amdhsa_forward_progress 0
		.amdhsa_shared_vgpr_count 0
		.amdhsa_exception_fp_ieee_invalid_op 0
		.amdhsa_exception_fp_denorm_src 0
		.amdhsa_exception_fp_ieee_div_zero 0
		.amdhsa_exception_fp_ieee_overflow 0
		.amdhsa_exception_fp_ieee_underflow 0
		.amdhsa_exception_fp_ieee_inexact 0
		.amdhsa_exception_int_div_zero 0
	.end_amdhsa_kernel
	.text
.Lfunc_end0:
	.size	fft_rtc_back_len1014_factors_13_6_13_wgs_156_tpt_78_half_op_CI_CI_unitstride_sbrr_C2R_dirReg, .Lfunc_end0-fft_rtc_back_len1014_factors_13_6_13_wgs_156_tpt_78_half_op_CI_CI_unitstride_sbrr_C2R_dirReg
                                        ; -- End function
	.section	.AMDGPU.csdata,"",@progbits
; Kernel info:
; codeLenInByte = 12204
; NumSgprs: 29
; NumVgprs: 128
; ScratchSize: 0
; MemoryBound: 0
; FloatMode: 240
; IeeeMode: 1
; LDSByteSize: 0 bytes/workgroup (compile time only)
; SGPRBlocks: 3
; VGPRBlocks: 15
; NumSGPRsForWavesPerEU: 29
; NumVGPRsForWavesPerEU: 128
; Occupancy: 8
; WaveLimiterHint : 1
; COMPUTE_PGM_RSRC2:SCRATCH_EN: 0
; COMPUTE_PGM_RSRC2:USER_SGPR: 6
; COMPUTE_PGM_RSRC2:TRAP_HANDLER: 0
; COMPUTE_PGM_RSRC2:TGID_X_EN: 1
; COMPUTE_PGM_RSRC2:TGID_Y_EN: 0
; COMPUTE_PGM_RSRC2:TGID_Z_EN: 0
; COMPUTE_PGM_RSRC2:TIDIG_COMP_CNT: 0
	.text
	.p2alignl 6, 3214868480
	.fill 48, 4, 3214868480
	.type	__hip_cuid_e250f6cd7078c530,@object ; @__hip_cuid_e250f6cd7078c530
	.section	.bss,"aw",@nobits
	.globl	__hip_cuid_e250f6cd7078c530
__hip_cuid_e250f6cd7078c530:
	.byte	0                               ; 0x0
	.size	__hip_cuid_e250f6cd7078c530, 1

	.ident	"AMD clang version 19.0.0git (https://github.com/RadeonOpenCompute/llvm-project roc-6.4.0 25133 c7fe45cf4b819c5991fe208aaa96edf142730f1d)"
	.section	".note.GNU-stack","",@progbits
	.addrsig
	.addrsig_sym __hip_cuid_e250f6cd7078c530
	.amdgpu_metadata
---
amdhsa.kernels:
  - .args:
      - .actual_access:  read_only
        .address_space:  global
        .offset:         0
        .size:           8
        .value_kind:     global_buffer
      - .offset:         8
        .size:           8
        .value_kind:     by_value
      - .actual_access:  read_only
        .address_space:  global
        .offset:         16
        .size:           8
        .value_kind:     global_buffer
      - .actual_access:  read_only
        .address_space:  global
        .offset:         24
        .size:           8
        .value_kind:     global_buffer
      - .actual_access:  read_only
        .address_space:  global
        .offset:         32
        .size:           8
        .value_kind:     global_buffer
      - .offset:         40
        .size:           8
        .value_kind:     by_value
      - .actual_access:  read_only
        .address_space:  global
        .offset:         48
        .size:           8
        .value_kind:     global_buffer
      - .actual_access:  read_only
        .address_space:  global
        .offset:         56
        .size:           8
        .value_kind:     global_buffer
      - .offset:         64
        .size:           4
        .value_kind:     by_value
      - .actual_access:  read_only
        .address_space:  global
        .offset:         72
        .size:           8
        .value_kind:     global_buffer
      - .actual_access:  read_only
        .address_space:  global
        .offset:         80
        .size:           8
        .value_kind:     global_buffer
      - .actual_access:  read_only
        .address_space:  global
        .offset:         88
        .size:           8
        .value_kind:     global_buffer
      - .actual_access:  write_only
        .address_space:  global
        .offset:         96
        .size:           8
        .value_kind:     global_buffer
    .group_segment_fixed_size: 0
    .kernarg_segment_align: 8
    .kernarg_segment_size: 104
    .language:       OpenCL C
    .language_version:
      - 2
      - 0
    .max_flat_workgroup_size: 156
    .name:           fft_rtc_back_len1014_factors_13_6_13_wgs_156_tpt_78_half_op_CI_CI_unitstride_sbrr_C2R_dirReg
    .private_segment_fixed_size: 0
    .sgpr_count:     29
    .sgpr_spill_count: 0
    .symbol:         fft_rtc_back_len1014_factors_13_6_13_wgs_156_tpt_78_half_op_CI_CI_unitstride_sbrr_C2R_dirReg.kd
    .uniform_work_group_size: 1
    .uses_dynamic_stack: false
    .vgpr_count:     128
    .vgpr_spill_count: 0
    .wavefront_size: 32
    .workgroup_processor_mode: 1
amdhsa.target:   amdgcn-amd-amdhsa--gfx1030
amdhsa.version:
  - 1
  - 2
...

	.end_amdgpu_metadata
